;; amdgpu-corpus repo=ROCm/rocFFT kind=compiled arch=gfx906 opt=O3
	.text
	.amdgcn_target "amdgcn-amd-amdhsa--gfx906"
	.amdhsa_code_object_version 6
	.protected	bluestein_single_fwd_len560_dim1_sp_op_CI_CI ; -- Begin function bluestein_single_fwd_len560_dim1_sp_op_CI_CI
	.globl	bluestein_single_fwd_len560_dim1_sp_op_CI_CI
	.p2align	8
	.type	bluestein_single_fwd_len560_dim1_sp_op_CI_CI,@function
bluestein_single_fwd_len560_dim1_sp_op_CI_CI: ; @bluestein_single_fwd_len560_dim1_sp_op_CI_CI
; %bb.0:
	s_load_dwordx4 s[8:11], s[4:5], 0x28
	v_mul_u32_u24_e32 v1, 0x493, v0
	v_add_u32_sdwa v60, s6, v1 dst_sel:DWORD dst_unused:UNUSED_PAD src0_sel:DWORD src1_sel:WORD_1
	v_mov_b32_e32 v61, 0
	s_waitcnt lgkmcnt(0)
	v_cmp_gt_u64_e32 vcc, s[8:9], v[60:61]
	s_and_saveexec_b64 s[0:1], vcc
	s_cbranch_execz .LBB0_23
; %bb.1:
	s_load_dwordx4 s[0:3], s[4:5], 0x18
	s_load_dwordx2 s[16:17], s[4:5], 0x0
	v_mov_b32_e32 v2, 56
	v_mul_lo_u16_sdwa v1, v1, v2 dst_sel:DWORD dst_unused:UNUSED_PAD src0_sel:WORD_1 src1_sel:DWORD
	v_sub_u16_e32 v82, v0, v1
	s_waitcnt lgkmcnt(0)
	s_load_dwordx4 s[12:15], s[0:1], 0x0
	v_lshlrev_b32_e32 v81, 3, v82
	v_mov_b32_e32 v20, s17
	v_add_co_u32_e64 v52, s[6:7], s16, v81
	s_waitcnt lgkmcnt(0)
	v_mad_u64_u32 v[4:5], s[0:1], s12, v82, 0
	v_mad_u64_u32 v[0:1], s[0:1], s14, v60, 0
	v_mov_b32_e32 v2, v5
	v_mad_u64_u32 v[5:6], s[0:1], s15, v60, v[1:2]
	v_mad_u64_u32 v[2:3], s[0:1], s13, v82, v[2:3]
	v_mov_b32_e32 v1, v5
	v_lshlrev_b64 v[0:1], 3, v[0:1]
	v_mov_b32_e32 v3, s11
	v_mov_b32_e32 v5, v2
	v_add_co_u32_e32 v2, vcc, s10, v0
	v_addc_co_u32_e32 v3, vcc, v3, v1, vcc
	v_lshlrev_b64 v[0:1], 3, v[4:5]
	s_mul_i32 s0, s13, 0x46
	s_mul_hi_u32 s1, s12, 0x46
	v_add_co_u32_e32 v0, vcc, v2, v0
	s_add_i32 s1, s1, s0
	s_mul_i32 s0, s12, 0x46
	v_addc_co_u32_e32 v1, vcc, v3, v1, vcc
	s_lshl_b64 s[18:19], s[0:1], 3
	global_load_dwordx2 v[4:5], v[0:1], off
	v_mov_b32_e32 v18, s19
	v_add_co_u32_e32 v0, vcc, s18, v0
	v_addc_co_u32_e32 v1, vcc, v1, v18, vcc
	v_add_co_u32_e32 v6, vcc, s18, v0
	v_addc_co_u32_e32 v7, vcc, v1, v18, vcc
	;; [unrolled: 2-line block ×3, first 2 shown]
	global_load_dwordx2 v[69:70], v81, s[16:17]
	global_load_dwordx2 v[67:68], v81, s[16:17] offset:560
	global_load_dwordx2 v[10:11], v[0:1], off
	global_load_dwordx2 v[12:13], v[6:7], off
	;; [unrolled: 1-line block ×3, first 2 shown]
	global_load_dwordx2 v[65:66], v81, s[16:17] offset:1120
	global_load_dwordx2 v[63:64], v81, s[16:17] offset:1680
	v_add_co_u32_e32 v0, vcc, s18, v8
	v_addc_co_u32_e32 v1, vcc, v9, v18, vcc
	global_load_dwordx2 v[6:7], v[0:1], off
	global_load_dwordx2 v[61:62], v81, s[16:17] offset:2240
	v_add_co_u32_e32 v0, vcc, s18, v0
	v_addc_co_u32_e32 v1, vcc, v1, v18, vcc
	global_load_dwordx2 v[8:9], v[0:1], off
	;; [unrolled: 4-line block ×3, first 2 shown]
	global_load_dwordx2 v[56:57], v81, s[16:17] offset:3360
	v_add_co_u32_e32 v0, vcc, s18, v0
	v_addc_co_u32_e32 v1, vcc, v1, v18, vcc
	global_load_dwordx2 v[54:55], v81, s[16:17] offset:3920
	global_load_dwordx2 v[18:19], v[0:1], off
	v_addc_co_u32_e64 v53, vcc, 0, v20, s[6:7]
	s_load_dwordx2 s[14:15], s[4:5], 0x38
	s_load_dwordx4 s[8:11], s[2:3], 0x0
	v_cmp_gt_u16_e64 s[0:1], 14, v82
	s_waitcnt vmcnt(14)
	v_mul_f32_e32 v20, v5, v70
	v_mul_f32_e32 v21, v4, v70
	v_fmac_f32_e32 v20, v4, v69
	v_fma_f32 v21, v5, v69, -v21
	s_waitcnt vmcnt(12)
	v_mul_f32_e32 v4, v11, v68
	v_mul_f32_e32 v5, v10, v68
	v_fmac_f32_e32 v4, v10, v67
	v_fma_f32 v5, v11, v67, -v5
	s_waitcnt vmcnt(9)
	v_mul_f32_e32 v10, v13, v66
	v_mul_f32_e32 v11, v12, v66
	ds_write2_b64 v81, v[20:21], v[4:5] offset1:70
	s_waitcnt vmcnt(8)
	v_mul_f32_e32 v4, v15, v64
	v_mul_f32_e32 v5, v14, v64
	v_fmac_f32_e32 v10, v12, v65
	v_fma_f32 v11, v13, v65, -v11
	v_fmac_f32_e32 v4, v14, v63
	v_fma_f32 v5, v15, v63, -v5
	s_waitcnt vmcnt(6)
	v_mul_f32_e32 v12, v7, v62
	v_mul_f32_e32 v13, v6, v62
	ds_write2_b64 v81, v[10:11], v[4:5] offset0:140 offset1:210
	s_waitcnt vmcnt(4)
	v_mul_f32_e32 v5, v9, v59
	v_mul_f32_e32 v4, v8, v59
	v_fmac_f32_e32 v12, v6, v61
	v_fma_f32 v13, v7, v61, -v13
	v_fmac_f32_e32 v5, v8, v58
	v_fma_f32 v6, v9, v58, -v4
	v_add_u32_e32 v4, 0x800, v81
	ds_write2_b64 v4, v[12:13], v[5:6] offset0:24 offset1:94
	s_waitcnt vmcnt(2)
	v_mul_f32_e32 v5, v17, v57
	v_mul_f32_e32 v6, v16, v57
	s_waitcnt vmcnt(0)
	v_mul_f32_e32 v7, v19, v55
	v_mul_f32_e32 v8, v18, v55
	v_fmac_f32_e32 v5, v16, v56
	v_fma_f32 v6, v17, v56, -v6
	v_fmac_f32_e32 v7, v18, v54
	v_fma_f32 v8, v19, v54, -v8
	ds_write2_b64 v4, v[5:6], v[7:8] offset0:164 offset1:234
	s_and_saveexec_b64 s[2:3], s[0:1]
	s_cbranch_execz .LBB0_3
; %bb.2:
	v_mov_b32_e32 v5, 0xfffff270
	v_mad_u64_u32 v[0:1], s[20:21], s12, v5, v[0:1]
	s_mul_i32 s16, s13, 0xfffff270
	s_sub_i32 s16, s16, s12
	v_add_u32_e32 v1, s16, v1
	global_load_dwordx2 v[5:6], v[0:1], off
	v_mov_b32_e32 v32, s19
	v_add_co_u32_e32 v0, vcc, s18, v0
	v_addc_co_u32_e32 v1, vcc, v1, v32, vcc
	global_load_dwordx2 v[7:8], v[0:1], off
	v_add_co_u32_e32 v0, vcc, s18, v0
	v_addc_co_u32_e32 v1, vcc, v1, v32, vcc
	global_load_dwordx2 v[9:10], v[0:1], off
	;; [unrolled: 3-line block ×3, first 2 shown]
	v_or_b32_e32 v15, 0x150, v82
	v_mad_u64_u32 v[11:12], s[20:21], s12, v15, 0
	s_waitcnt vmcnt(0)
	v_mad_u64_u32 v[15:16], s[20:21], s13, v15, v[12:13]
	global_load_dwordx2 v[16:17], v[52:53], off offset:448
	global_load_dwordx2 v[18:19], v[52:53], off offset:1008
	;; [unrolled: 1-line block ×4, first 2 shown]
	v_mov_b32_e32 v12, v15
	v_mov_b32_e32 v15, 0x460
	v_mad_u64_u32 v[0:1], s[20:21], s12, v15, v[0:1]
	v_lshlrev_b64 v[11:12], 3, v[11:12]
	s_mul_i32 s12, s13, 0x460
	v_add_co_u32_e32 v2, vcc, v2, v11
	v_addc_co_u32_e32 v3, vcc, v3, v12, vcc
	v_add_u32_e32 v1, s12, v1
	global_load_dwordx2 v[11:12], v[0:1], off
	v_add_co_u32_e32 v0, vcc, s18, v0
	v_addc_co_u32_e32 v1, vcc, v1, v32, vcc
	global_load_dwordx2 v[2:3], v[2:3], off
	s_nop 0
	global_load_dwordx2 v[24:25], v[0:1], off
	global_load_dwordx2 v[26:27], v[52:53], off offset:2688
	global_load_dwordx2 v[28:29], v[52:53], off offset:3248
	global_load_dwordx2 v[30:31], v[52:53], off offset:3808
	v_add_co_u32_e32 v0, vcc, s18, v0
	v_addc_co_u32_e32 v1, vcc, v1, v32, vcc
	v_add_co_u32_e32 v32, vcc, 0x1000, v52
	v_addc_co_u32_e32 v33, vcc, 0, v53, vcc
	global_load_dwordx2 v[34:35], v[32:33], off offset:272
	global_load_dwordx2 v[36:37], v[0:1], off
	v_add_u32_e32 v15, 0x400, v81
	s_waitcnt vmcnt(11)
	v_mul_f32_e32 v0, v6, v17
	v_mul_f32_e32 v1, v5, v17
	v_fmac_f32_e32 v0, v5, v16
	v_fma_f32 v1, v6, v16, -v1
	s_waitcnt vmcnt(10)
	v_mul_f32_e32 v5, v8, v19
	v_mul_f32_e32 v6, v7, v19
	v_fmac_f32_e32 v5, v7, v18
	v_fma_f32 v6, v8, v18, -v6
	s_waitcnt vmcnt(9)
	v_mul_f32_e32 v7, v10, v21
	v_mul_f32_e32 v8, v9, v21
	ds_write2_b64 v81, v[0:1], v[5:6] offset0:56 offset1:126
	s_waitcnt vmcnt(8)
	v_mul_f32_e32 v0, v14, v23
	v_mul_f32_e32 v1, v13, v23
	v_fmac_f32_e32 v7, v9, v20
	v_fma_f32 v8, v10, v20, -v8
	v_fmac_f32_e32 v0, v13, v22
	v_fma_f32 v1, v14, v22, -v1
	ds_write2_b64 v15, v[7:8], v[0:1] offset0:68 offset1:138
	s_waitcnt vmcnt(4)
	v_mul_f32_e32 v0, v3, v27
	v_mul_f32_e32 v1, v2, v27
	s_waitcnt vmcnt(3)
	v_mul_f32_e32 v5, v12, v29
	v_mul_f32_e32 v6, v11, v29
	v_fmac_f32_e32 v0, v2, v26
	v_fma_f32 v1, v3, v26, -v1
	v_fmac_f32_e32 v5, v11, v28
	v_fma_f32 v6, v12, v28, -v6
	s_waitcnt vmcnt(2)
	v_mul_f32_e32 v2, v25, v31
	v_mul_f32_e32 v3, v24, v31
	ds_write2_b64 v4, v[0:1], v[5:6] offset0:80 offset1:150
	s_waitcnt vmcnt(0)
	v_mul_f32_e32 v0, v37, v35
	v_mul_f32_e32 v1, v36, v35
	v_fmac_f32_e32 v2, v24, v30
	v_fma_f32 v3, v25, v30, -v3
	v_fmac_f32_e32 v0, v36, v34
	v_fma_f32 v1, v37, v34, -v1
	v_add_u32_e32 v5, 0xc00, v81
	ds_write2_b64 v5, v[2:3], v[0:1] offset0:92 offset1:162
.LBB0_3:
	s_or_b64 exec, exec, s[2:3]
	s_waitcnt lgkmcnt(0)
	; wave barrier
	s_waitcnt lgkmcnt(0)
	ds_read2_b64 v[20:23], v81 offset1:70
	ds_read2_b64 v[16:19], v81 offset0:140 offset1:210
	ds_read2_b64 v[28:31], v4 offset0:24 offset1:94
	;; [unrolled: 1-line block ×3, first 2 shown]
                                        ; implicit-def: $vgpr14
                                        ; implicit-def: $vgpr10
                                        ; implicit-def: $vgpr6
                                        ; implicit-def: $vgpr2
	s_and_saveexec_b64 s[2:3], s[0:1]
	s_cbranch_execz .LBB0_5
; %bb.4:
	v_add_u32_e32 v4, 0x400, v81
	v_add_u32_e32 v8, 0x800, v81
	v_add_u32_e32 v12, 0xc00, v81
	ds_read2_b64 v[0:3], v81 offset0:56 offset1:126
	ds_read2_b64 v[4:7], v4 offset0:68 offset1:138
	;; [unrolled: 1-line block ×4, first 2 shown]
.LBB0_5:
	s_or_b64 exec, exec, s[2:3]
	s_waitcnt lgkmcnt(1)
	v_sub_f32_e32 v28, v20, v28
	v_sub_f32_e32 v29, v21, v29
	s_waitcnt lgkmcnt(0)
	v_sub_f32_e32 v24, v16, v24
	v_sub_f32_e32 v25, v17, v25
	;; [unrolled: 1-line block ×6, first 2 shown]
	v_fma_f32 v20, v20, 2.0, -v28
	v_fma_f32 v21, v21, 2.0, -v29
	;; [unrolled: 1-line block ×8, first 2 shown]
	v_sub_f32_e32 v32, v20, v16
	v_sub_f32_e32 v33, v21, v17
	;; [unrolled: 1-line block ×4, first 2 shown]
	v_fma_f32 v16, v20, 2.0, -v32
	v_fma_f32 v17, v21, 2.0, -v33
	;; [unrolled: 1-line block ×4, first 2 shown]
	v_sub_f32_e32 v20, v28, v25
	v_add_f32_e32 v21, v29, v24
	v_sub_f32_e32 v24, v16, v22
	v_sub_f32_e32 v25, v17, v23
	;; [unrolled: 1-line block ×3, first 2 shown]
	v_add_f32_e32 v35, v31, v26
	v_fma_f32 v36, v16, 2.0, -v24
	v_fma_f32 v37, v17, 2.0, -v25
	v_sub_f32_e32 v16, v32, v19
	v_add_f32_e32 v17, v33, v18
	v_mov_b32_e32 v18, v20
	v_mov_b32_e32 v19, v21
	v_fmac_f32_e32 v18, 0x3f3504f3, v34
	v_fmac_f32_e32 v19, 0x3f3504f3, v35
	v_sub_f32_e32 v8, v0, v8
	v_sub_f32_e32 v9, v1, v9
	;; [unrolled: 1-line block ×6, first 2 shown]
	v_fma_f32 v28, v28, 2.0, -v20
	v_fma_f32 v30, v30, 2.0, -v34
	;; [unrolled: 1-line block ×3, first 2 shown]
	v_fmac_f32_e32 v18, 0xbf3504f3, v35
	v_fmac_f32_e32 v19, 0x3f3504f3, v34
	v_fma_f32 v0, v0, 2.0, -v8
	v_fma_f32 v4, v4, 2.0, -v12
	v_sub_f32_e32 v11, v3, v11
	v_fma_f32 v2, v2, 2.0, -v10
	v_sub_f32_e32 v15, v7, v15
	;; [unrolled: 2-line block ×3, first 2 shown]
	v_add_f32_e32 v35, v12, v9
	s_load_dwordx2 s[4:5], s[4:5], 0x8
	v_fma_f32 v29, v29, 2.0, -v21
	v_mov_b32_e32 v26, v28
	v_fma_f32 v1, v1, 2.0, -v9
	v_fma_f32 v5, v5, 2.0, -v13
	v_fma_f32 v3, v3, 2.0, -v11
	v_fma_f32 v7, v7, 2.0, -v15
	v_sub_f32_e32 v4, v0, v4
	v_fma_f32 v8, v8, 2.0, -v34
	v_fma_f32 v9, v9, 2.0, -v35
	v_sub_f32_e32 v6, v2, v6
	v_sub_f32_e32 v45, v10, v15
	v_add_f32_e32 v46, v14, v11
	v_fmac_f32_e32 v26, 0xbf3504f3, v30
	v_mov_b32_e32 v27, v29
	v_sub_f32_e32 v5, v1, v5
	v_fma_f32 v0, v0, 2.0, -v4
	v_sub_f32_e32 v7, v3, v7
	v_fma_f32 v2, v2, 2.0, -v6
	v_fma_f32 v10, v10, 2.0, -v45
	;; [unrolled: 1-line block ×3, first 2 shown]
	v_mov_b32_e32 v22, v8
	v_mov_b32_e32 v23, v9
	;; [unrolled: 1-line block ×4, first 2 shown]
	v_fmac_f32_e32 v27, 0xbf3504f3, v31
	v_fmac_f32_e32 v26, 0xbf3504f3, v31
	v_fma_f32 v42, v20, 2.0, -v18
	v_fma_f32 v1, v1, 2.0, -v5
	;; [unrolled: 1-line block ×3, first 2 shown]
	v_sub_f32_e32 v20, v0, v2
	v_fmac_f32_e32 v22, 0xbf3504f3, v10
	v_fmac_f32_e32 v23, 0xbf3504f3, v11
	;; [unrolled: 1-line block ×4, first 2 shown]
	v_add_co_u32_e32 v44, vcc, 56, v82
	v_fmac_f32_e32 v27, 0x3f3504f3, v30
	v_fma_f32 v38, v28, 2.0, -v26
	v_fma_f32 v43, v21, 2.0, -v19
	v_sub_f32_e32 v21, v1, v3
	v_fma_f32 v28, v0, 2.0, -v20
	v_fmac_f32_e32 v22, 0xbf3504f3, v11
	v_fmac_f32_e32 v23, 0x3f3504f3, v10
	v_sub_f32_e32 v12, v4, v7
	v_add_f32_e32 v13, v6, v5
	v_fmac_f32_e32 v14, 0xbf3504f3, v46
	v_fmac_f32_e32 v15, 0x3f3504f3, v45
	v_lshlrev_b16_e32 v0, 3, v82
	v_fma_f32 v39, v29, 2.0, -v27
	v_fma_f32 v40, v32, 2.0, -v16
	;; [unrolled: 1-line block ×10, first 2 shown]
	v_lshlrev_b32_e32 v85, 3, v0
	v_lshlrev_b32_e32 v84, 6, v44
	s_waitcnt lgkmcnt(0)
	; wave barrier
	s_waitcnt lgkmcnt(0)
	ds_write_b128 v85, v[36:39]
	ds_write_b128 v85, v[40:43] offset:16
	ds_write_b128 v85, v[24:27] offset:32
	;; [unrolled: 1-line block ×3, first 2 shown]
	s_and_saveexec_b64 s[2:3], s[0:1]
	s_cbranch_execz .LBB0_7
; %bb.6:
	ds_write_b128 v84, v[28:31]
	ds_write_b128 v84, v[32:35] offset:16
	ds_write_b128 v84, v[20:23] offset:32
	;; [unrolled: 1-line block ×3, first 2 shown]
.LBB0_7:
	s_or_b64 exec, exec, s[2:3]
	v_add_u32_e32 v0, 0x800, v81
	s_waitcnt lgkmcnt(0)
	; wave barrier
	s_waitcnt lgkmcnt(0)
	ds_read2_b64 v[24:27], v81 offset1:80
	ds_read2_b64 v[36:39], v81 offset0:160 offset1:240
	ds_read2_b64 v[40:43], v0 offset0:64 offset1:144
	ds_read_b64 v[16:17], v81 offset:3840
	v_cmp_gt_u16_e64 s[2:3], 24, v82
	s_and_saveexec_b64 s[12:13], s[2:3]
	s_cbranch_execz .LBB0_9
; %bb.8:
	v_add_u32_e32 v8, 0x400, v81
	ds_read2_b64 v[0:3], v0 offset0:120 offset1:200
	ds_read2_b64 v[4:7], v81 offset0:56 offset1:136
	ds_read_b64 v[22:23], v81 offset:4288
	ds_read2_b64 v[8:11], v8 offset0:88 offset1:168
	s_waitcnt lgkmcnt(3)
	v_mov_b32_e32 v20, v2
	v_mov_b32_e32 v21, v3
	v_mov_b32_e32 v34, v0
	v_mov_b32_e32 v35, v1
	s_waitcnt lgkmcnt(0)
	v_mov_b32_e32 v32, v10
	v_mov_b32_e32 v33, v11
	;; [unrolled: 1-line block ×8, first 2 shown]
.LBB0_9:
	s_or_b64 exec, exec, s[12:13]
	v_and_b32_e32 v83, 7, v82
	v_mul_u32_u24_e32 v0, 6, v83
	v_lshlrev_b32_e32 v45, 3, v0
	global_load_dwordx4 v[0:3], v45, s[4:5]
	global_load_dwordx4 v[8:11], v45, s[4:5] offset:16
	global_load_dwordx4 v[4:7], v45, s[4:5] offset:32
	s_mov_b32 s12, 0x3f5ff5aa
	s_mov_b32 s16, 0xbf3bfb3b
	;; [unrolled: 1-line block ×4, first 2 shown]
	s_waitcnt lgkmcnt(0)
	; wave barrier
	s_waitcnt vmcnt(2) lgkmcnt(0)
	v_mul_f32_e32 v45, v27, v1
	v_mul_f32_e32 v46, v26, v1
	;; [unrolled: 1-line block ×3, first 2 shown]
	s_waitcnt vmcnt(1)
	v_mul_f32_e32 v49, v39, v9
	s_waitcnt vmcnt(0)
	v_mul_f32_e32 v72, v43, v5
	v_mul_f32_e32 v74, v17, v7
	;; [unrolled: 1-line block ×10, first 2 shown]
	v_fma_f32 v26, v26, v0, -v45
	v_fmac_f32_e32 v46, v27, v0
	v_fma_f32 v27, v36, v2, -v47
	v_fma_f32 v36, v38, v8, -v49
	v_fma_f32 v38, v42, v4, -v72
	v_fma_f32 v16, v16, v6, -v74
	v_mul_f32_e32 v71, v40, v11
	v_mul_f32_e32 v76, v29, v1
	;; [unrolled: 1-line block ×8, first 2 shown]
	v_fmac_f32_e32 v48, v37, v2
	v_fma_f32 v37, v40, v10, -v51
	v_fmac_f32_e32 v73, v43, v4
	v_fmac_f32_e32 v75, v17, v6
	;; [unrolled: 1-line block ×4, first 2 shown]
	v_fma_f32 v21, v22, v6, -v91
	v_add_f32_e32 v22, v26, v16
	v_add_f32_e32 v31, v27, v38
	v_mul_f32_e32 v86, v32, v9
	v_mul_f32_e32 v88, v34, v11
	v_fmac_f32_e32 v50, v39, v8
	v_fmac_f32_e32 v71, v41, v10
	v_fma_f32 v17, v28, v0, -v76
	v_fmac_f32_e32 v77, v29, v0
	v_fma_f32 v28, v30, v2, -v78
	v_fma_f32 v29, v32, v8, -v80
	;; [unrolled: 1-line block ×3, first 2 shown]
	v_fmac_f32_e32 v92, v23, v6
	v_add_f32_e32 v23, v46, v75
	v_add_f32_e32 v32, v48, v73
	v_sub_f32_e32 v27, v27, v38
	v_add_f32_e32 v34, v36, v37
	v_add_f32_e32 v38, v31, v22
	v_fmac_f32_e32 v88, v35, v10
	v_add_f32_e32 v35, v50, v71
	v_sub_f32_e32 v36, v37, v36
	v_add_f32_e32 v39, v32, v23
	v_add_f32_e32 v38, v34, v38
	v_sub_f32_e32 v40, v31, v22
	v_sub_f32_e32 v22, v22, v34
	;; [unrolled: 1-line block ×4, first 2 shown]
	v_add_f32_e32 v39, v35, v39
	v_add_f32_e32 v34, v24, v38
	v_fmac_f32_e32 v86, v33, v8
	v_sub_f32_e32 v16, v26, v16
	v_sub_f32_e32 v33, v48, v73
	;; [unrolled: 1-line block ×6, first 2 shown]
	v_add_f32_e32 v35, v25, v39
	v_mul_f32_e32 v48, 0xbf08b237, v45
	v_mov_b32_e32 v45, v34
	v_sub_f32_e32 v26, v46, v75
	v_add_f32_e32 v42, v36, v27
	v_sub_f32_e32 v46, v37, v33
	v_sub_f32_e32 v36, v16, v36
	;; [unrolled: 1-line block ×3, first 2 shown]
	v_mul_f32_e32 v22, 0x3f4a47b2, v22
	v_mul_f32_e32 v23, 0x3f4a47b2, v23
	v_fmac_f32_e32 v45, 0xbf955555, v38
	v_mov_b32_e32 v38, v35
	v_add_f32_e32 v43, v37, v33
	v_sub_f32_e32 v37, v26, v37
	v_sub_f32_e32 v33, v33, v26
	v_add_f32_e32 v16, v42, v16
	v_mul_f32_e32 v24, 0x3d64c772, v31
	v_mul_f32_e32 v47, 0xbf08b237, v46
	;; [unrolled: 1-line block ×3, first 2 shown]
	v_fmac_f32_e32 v38, 0xbf955555, v39
	v_fma_f32 v39, v40, s16, -v22
	v_fmac_f32_e32 v22, 0x3d64c772, v31
	v_fma_f32 v31, v41, s16, -v23
	;; [unrolled: 2-line block ×4, first 2 shown]
	v_add_f32_e32 v26, v43, v26
	v_mul_f32_e32 v25, 0x3d64c772, v32
	v_mul_f32_e32 v43, 0x3f5ff5aa, v33
	v_fma_f32 v24, v40, s13, -v24
	v_fma_f32 v32, v33, s12, -v47
	v_fmac_f32_e32 v47, 0x3eae86e6, v37
	v_fma_f32 v33, v36, s18, -v42
	v_add_f32_e32 v23, v23, v38
	v_fmac_f32_e32 v48, 0x3ee1c552, v16
	v_fma_f32 v25, v41, s13, -v25
	v_fma_f32 v46, v37, s18, -v43
	v_add_f32_e32 v22, v22, v45
	v_add_f32_e32 v24, v24, v45
	v_fmac_f32_e32 v47, 0x3ee1c552, v26
	v_fmac_f32_e32 v27, 0x3ee1c552, v16
	;; [unrolled: 1-line block ×4, first 2 shown]
	v_sub_f32_e32 v37, v23, v48
	v_add_f32_e32 v48, v48, v23
	v_add_f32_e32 v16, v17, v21
	v_add_f32_e32 v23, v28, v20
	v_add_f32_e32 v25, v25, v38
	v_add_f32_e32 v45, v39, v45
	v_add_f32_e32 v31, v31, v38
	v_fmac_f32_e32 v46, 0x3ee1c552, v26
	v_add_f32_e32 v36, v47, v22
	v_sub_f32_e32 v40, v24, v32
	v_add_f32_e32 v42, v32, v24
	v_sub_f32_e32 v47, v22, v47
	v_add_f32_e32 v22, v77, v92
	v_add_f32_e32 v24, v79, v90
	v_sub_f32_e32 v20, v28, v20
	v_add_f32_e32 v26, v29, v30
	v_sub_f32_e32 v28, v30, v29
	v_add_f32_e32 v30, v23, v16
	v_add_f32_e32 v38, v46, v45
	v_sub_f32_e32 v39, v31, v33
	v_add_f32_e32 v41, v27, v25
	v_sub_f32_e32 v43, v25, v27
	v_sub_f32_e32 v45, v45, v46
	v_add_f32_e32 v46, v33, v31
	v_sub_f32_e32 v17, v17, v21
	v_add_f32_e32 v27, v86, v88
	v_add_f32_e32 v31, v24, v22
	v_sub_f32_e32 v32, v23, v16
	v_sub_f32_e32 v49, v16, v26
	;; [unrolled: 1-line block ×3, first 2 shown]
	v_add_f32_e32 v16, v28, v20
	v_add_f32_e32 v26, v26, v30
	v_sub_f32_e32 v25, v79, v90
	v_sub_f32_e32 v29, v88, v86
	;; [unrolled: 1-line block ×5, first 2 shown]
	v_add_f32_e32 v27, v27, v31
	v_add_f32_e32 v30, v16, v17
	;; [unrolled: 1-line block ×3, first 2 shown]
	v_sub_f32_e32 v21, v77, v92
	v_add_f32_e32 v50, v29, v25
	v_sub_f32_e32 v51, v28, v20
	v_sub_f32_e32 v28, v17, v28
	;; [unrolled: 1-line block ×3, first 2 shown]
	v_add_f32_e32 v17, v19, v27
	v_mov_b32_e32 v72, v16
	v_sub_f32_e32 v71, v29, v25
	v_sub_f32_e32 v29, v21, v29
	;; [unrolled: 1-line block ×3, first 2 shown]
	v_add_f32_e32 v31, v50, v21
	v_mul_f32_e32 v49, 0x3f4a47b2, v49
	v_mul_f32_e32 v21, 0x3d64c772, v23
	v_fmac_f32_e32 v72, 0xbf955555, v26
	v_mov_b32_e32 v26, v17
	v_mul_f32_e32 v18, 0xbf08b237, v51
	v_fmac_f32_e32 v26, 0xbf955555, v27
	v_fma_f32 v27, v32, s13, -v21
	v_fma_f32 v32, v32, s16, -v49
	v_fmac_f32_e32 v49, 0x3d64c772, v23
	v_mul_f32_e32 v50, 0x3f4a47b2, v22
	v_mul_f32_e32 v22, 0x3d64c772, v24
	;; [unrolled: 1-line block ×5, first 2 shown]
	v_fma_f32 v74, v20, s12, -v18
	v_add_f32_e32 v20, v49, v72
	v_lshrrev_b32_e32 v49, 3, v82
	v_fma_f32 v73, v33, s13, -v22
	v_fma_f32 v33, v33, s16, -v50
	v_fmac_f32_e32 v50, 0x3d64c772, v24
	v_fmac_f32_e32 v18, 0x3eae86e6, v28
	v_fma_f32 v75, v25, s12, -v19
	v_fmac_f32_e32 v19, 0x3eae86e6, v29
	v_fma_f32 v21, v28, s18, -v51
	v_fma_f32 v22, v29, s18, -v71
	v_mul_u32_u24_e32 v49, 56, v49
	v_add_f32_e32 v23, v50, v26
	v_add_f32_e32 v27, v27, v72
	v_add_f32_e32 v28, v73, v26
	v_add_f32_e32 v32, v32, v72
	v_add_f32_e32 v33, v33, v26
	v_fmac_f32_e32 v18, 0x3ee1c552, v30
	v_fmac_f32_e32 v19, 0x3ee1c552, v31
	;; [unrolled: 1-line block ×6, first 2 shown]
	v_or_b32_e32 v49, v49, v83
	v_sub_f32_e32 v24, v27, v75
	v_add_f32_e32 v25, v74, v28
	v_add_f32_e32 v26, v75, v27
	v_sub_f32_e32 v27, v28, v74
	v_sub_f32_e32 v28, v32, v22
	v_add_f32_e32 v29, v21, v33
	v_sub_f32_e32 v30, v20, v19
	v_add_f32_e32 v31, v18, v23
	v_lshlrev_b32_e32 v87, 3, v49
	v_lshrrev_b32_e32 v86, 3, v44
	ds_write2_b64 v87, v[34:35], v[36:37] offset1:8
	ds_write2_b64 v87, v[38:39], v[40:41] offset0:16 offset1:24
	ds_write2_b64 v87, v[42:43], v[45:46] offset0:32 offset1:40
	ds_write_b64 v87, v[47:48] offset:384
	s_and_saveexec_b64 s[12:13], s[2:3]
	s_cbranch_execz .LBB0_11
; %bb.10:
	v_sub_f32_e32 v33, v33, v21
	v_sub_f32_e32 v21, v23, v18
	v_mul_u32_u24_e32 v18, 56, v86
	v_or_b32_e32 v18, v18, v83
	v_add_f32_e32 v20, v19, v20
	v_lshlrev_b32_e32 v18, 3, v18
	v_add_f32_e32 v32, v22, v32
	ds_write2_b64 v18, v[16:17], v[20:21] offset1:8
	ds_write2_b64 v18, v[32:33], v[24:25] offset0:16 offset1:24
	ds_write2_b64 v18, v[26:27], v[28:29] offset0:32 offset1:40
	ds_write_b64 v18, v[30:31] offset:384
.LBB0_11:
	s_or_b64 exec, exec, s[12:13]
	v_lshlrev_b32_e32 v36, 5, v82
	s_waitcnt lgkmcnt(0)
	; wave barrier
	s_waitcnt lgkmcnt(0)
	global_load_dwordx4 v[20:23], v36, s[4:5] offset:384
	global_load_dwordx4 v[16:19], v36, s[4:5] offset:400
	v_add_u32_e32 v38, 0x400, v81
	ds_read2_b64 v[32:35], v81 offset1:56
	ds_read2_b64 v[39:42], v81 offset0:112 offset1:168
	v_add_u32_e32 v44, 0x800, v81
	ds_read2_b64 v[45:48], v38 offset0:96 offset1:152
	ds_read2_b64 v[71:74], v44 offset0:80 offset1:136
	;; [unrolled: 1-line block ×3, first 2 shown]
	v_mov_b32_e32 v37, s5
	v_add_co_u32_e32 v43, vcc, s4, v36
	v_addc_co_u32_e32 v51, vcc, 0, v37, vcc
	s_waitcnt lgkmcnt(0)
	; wave barrier
	s_waitcnt lgkmcnt(0)
	s_movk_i32 s5, 0x1000
	s_movk_i32 s4, 0x1180
	s_waitcnt vmcnt(1)
	v_mul_f32_e32 v36, v40, v21
	v_mul_f32_e32 v37, v46, v23
	s_waitcnt vmcnt(0)
	v_mul_f32_e32 v79, v72, v17
	v_mul_f32_e32 v88, v76, v19
	;; [unrolled: 1-line block ×6, first 2 shown]
	v_fma_f32 v36, v39, v20, -v36
	v_fma_f32 v37, v45, v22, -v37
	;; [unrolled: 1-line block ×4, first 2 shown]
	v_mul_f32_e32 v89, v75, v19
	v_mul_f32_e32 v91, v41, v21
	;; [unrolled: 1-line block ×5, first 2 shown]
	v_fmac_f32_e32 v49, v40, v20
	v_fmac_f32_e32 v80, v72, v16
	v_fma_f32 v72, v41, v20, -v90
	v_add_f32_e32 v40, v32, v36
	v_add_f32_e32 v41, v37, v39
	;; [unrolled: 1-line block ×3, first 2 shown]
	v_mul_f32_e32 v92, v48, v23
	v_mul_f32_e32 v93, v47, v23
	;; [unrolled: 1-line block ×3, first 2 shown]
	v_fmac_f32_e32 v50, v46, v22
	v_fmac_f32_e32 v89, v76, v18
	v_fma_f32 v76, v73, v16, -v94
	v_fmac_f32_e32 v95, v74, v16
	v_fma_f32 v74, v77, v18, -v96
	v_sub_f32_e32 v46, v36, v37
	v_sub_f32_e32 v73, v37, v36
	;; [unrolled: 1-line block ×4, first 2 shown]
	v_add_f32_e32 v40, v40, v37
	v_fma_f32 v36, -0.5, v41, v32
	v_fma_f32 v32, -0.5, v71, v32
	v_fmac_f32_e32 v91, v42, v20
	v_fma_f32 v75, v47, v22, -v92
	v_fmac_f32_e32 v93, v48, v22
	v_sub_f32_e32 v42, v49, v89
	v_sub_f32_e32 v47, v50, v80
	;; [unrolled: 1-line block ×3, first 2 shown]
	v_add_f32_e32 v79, v50, v80
	v_sub_f32_e32 v90, v37, v39
	v_add_f32_e32 v71, v73, v77
	v_add_f32_e32 v73, v40, v39
	v_mov_b32_e32 v39, v36
	v_mov_b32_e32 v41, v32
	v_fma_f32 v37, -0.5, v79, v33
	v_fmac_f32_e32 v36, 0xbf737871, v42
	v_fmac_f32_e32 v32, 0x3f737871, v47
	;; [unrolled: 1-line block ×4, first 2 shown]
	v_add_f32_e32 v48, v46, v48
	v_mov_b32_e32 v40, v37
	v_fmac_f32_e32 v36, 0xbf167918, v47
	v_fmac_f32_e32 v32, 0xbf167918, v42
	;; [unrolled: 1-line block ×4, first 2 shown]
	v_sub_f32_e32 v42, v49, v50
	v_sub_f32_e32 v47, v89, v80
	v_fmac_f32_e32 v40, 0xbf737871, v88
	v_fmac_f32_e32 v36, 0x3e9e377a, v48
	;; [unrolled: 1-line block ×3, first 2 shown]
	v_add_f32_e32 v42, v42, v47
	v_fmac_f32_e32 v37, 0x3f737871, v88
	v_sub_f32_e32 v47, v50, v49
	v_sub_f32_e32 v48, v80, v89
	v_fmac_f32_e32 v40, 0xbf167918, v90
	v_fmac_f32_e32 v37, 0x3f167918, v90
	v_add_f32_e32 v47, v47, v48
	v_add_f32_e32 v48, v75, v76
	v_fmac_f32_e32 v97, v78, v18
	v_add_f32_e32 v78, v33, v49
	v_fmac_f32_e32 v40, 0x3e9e377a, v42
	v_fmac_f32_e32 v37, 0x3e9e377a, v42
	v_add_f32_e32 v42, v49, v89
	v_fma_f32 v49, -0.5, v48, v34
	v_fmac_f32_e32 v32, 0x3e9e377a, v71
	v_fmac_f32_e32 v41, 0x3e9e377a, v71
	v_fma_f32 v33, -0.5, v42, v33
	v_sub_f32_e32 v48, v91, v97
	v_mov_b32_e32 v71, v49
	v_add_f32_e32 v46, v78, v50
	v_add_f32_e32 v45, v73, v45
	v_mov_b32_e32 v42, v33
	v_fmac_f32_e32 v71, 0x3f737871, v48
	v_sub_f32_e32 v50, v93, v95
	v_sub_f32_e32 v73, v72, v75
	;; [unrolled: 1-line block ×3, first 2 shown]
	v_fmac_f32_e32 v49, 0xbf737871, v48
	v_fmac_f32_e32 v42, 0x3f737871, v90
	;; [unrolled: 1-line block ×4, first 2 shown]
	v_add_f32_e32 v73, v73, v77
	v_fmac_f32_e32 v49, 0xbf167918, v50
	v_fmac_f32_e32 v42, 0xbf167918, v88
	;; [unrolled: 1-line block ×5, first 2 shown]
	v_add_f32_e32 v73, v72, v74
	v_fmac_f32_e32 v42, 0x3e9e377a, v47
	v_fmac_f32_e32 v33, 0x3e9e377a, v47
	v_add_f32_e32 v47, v34, v72
	v_fma_f32 v34, -0.5, v73, v34
	v_mov_b32_e32 v73, v34
	v_fmac_f32_e32 v73, 0xbf737871, v50
	v_sub_f32_e32 v77, v75, v72
	v_sub_f32_e32 v78, v76, v74
	v_fmac_f32_e32 v34, 0x3f737871, v50
	v_add_f32_e32 v50, v93, v95
	v_add_f32_e32 v47, v47, v75
	v_fmac_f32_e32 v73, 0x3f167918, v48
	v_add_f32_e32 v77, v77, v78
	v_fmac_f32_e32 v34, 0xbf167918, v48
	v_fma_f32 v50, -0.5, v50, v35
	v_add_f32_e32 v47, v47, v76
	v_fmac_f32_e32 v73, 0x3e9e377a, v77
	v_fmac_f32_e32 v34, 0x3e9e377a, v77
	v_sub_f32_e32 v77, v72, v74
	v_mov_b32_e32 v72, v50
	v_add_f32_e32 v47, v47, v74
	v_fmac_f32_e32 v72, 0xbf737871, v77
	v_sub_f32_e32 v75, v75, v76
	v_sub_f32_e32 v74, v91, v93
	;; [unrolled: 1-line block ×3, first 2 shown]
	v_fmac_f32_e32 v50, 0x3f737871, v77
	v_fmac_f32_e32 v72, 0xbf167918, v75
	v_add_f32_e32 v74, v74, v76
	v_fmac_f32_e32 v50, 0x3f167918, v75
	v_fmac_f32_e32 v72, 0x3e9e377a, v74
	;; [unrolled: 1-line block ×3, first 2 shown]
	v_add_f32_e32 v74, v91, v97
	v_add_f32_e32 v48, v35, v91
	v_fmac_f32_e32 v35, -0.5, v74
	v_mov_b32_e32 v74, v35
	v_add_f32_e32 v46, v46, v80
	v_add_f32_e32 v48, v48, v93
	v_fmac_f32_e32 v74, 0x3f737871, v75
	v_sub_f32_e32 v76, v93, v91
	v_sub_f32_e32 v78, v95, v97
	v_fmac_f32_e32 v35, 0xbf737871, v75
	v_add_f32_e32 v46, v46, v89
	v_add_f32_e32 v48, v48, v95
	v_fmac_f32_e32 v74, 0xbf167918, v77
	v_add_f32_e32 v76, v76, v78
	v_fmac_f32_e32 v35, 0x3f167918, v77
	;; [unrolled: 2-line block ×3, first 2 shown]
	v_fmac_f32_e32 v35, 0x3e9e377a, v76
	ds_write2_b64 v81, v[45:46], v[39:40] offset1:56
	ds_write2_b64 v81, v[41:42], v[32:33] offset0:112 offset1:168
	ds_write2_b64 v38, v[36:37], v[47:48] offset0:96 offset1:152
	;; [unrolled: 1-line block ×4, first 2 shown]
	v_mul_i32_i24_e32 v32, 0xffffffe8, v82
	v_mul_hi_i32_i24_e32 v33, 0xffffffe8, v82
	v_add_co_u32_e32 v32, vcc, v43, v32
	v_addc_co_u32_e32 v33, vcc, v51, v33, vcc
	s_waitcnt lgkmcnt(0)
	; wave barrier
	s_waitcnt lgkmcnt(0)
	global_load_dwordx2 v[71:72], v[32:33], off offset:2176
	global_load_dwordx2 v[73:74], v[32:33], off offset:2624
	;; [unrolled: 1-line block ×5, first 2 shown]
	v_mov_b32_e32 v32, s17
	v_addc_co_u32_e64 v43, vcc, 0, v32, s[6:7]
	ds_read2_b64 v[32:35], v38 offset0:96 offset1:152
	ds_read2_b64 v[39:42], v81 offset1:56
	ds_read2_b64 v[45:48], v44 offset0:80 offset1:136
	ds_read2_b64 v[88:91], v81 offset0:112 offset1:168
	;; [unrolled: 1-line block ×3, first 2 shown]
	s_waitcnt vmcnt(4) lgkmcnt(4)
	v_mul_f32_e32 v36, v35, v72
	v_fma_f32 v36, v34, v71, -v36
	s_waitcnt vmcnt(2) lgkmcnt(2)
	v_mul_f32_e32 v37, v48, v76
	v_fma_f32 v50, v47, v75, -v37
	s_waitcnt vmcnt(1) lgkmcnt(0)
	v_mul_f32_e32 v37, v93, v78
	v_mul_f32_e32 v34, v34, v72
	;; [unrolled: 1-line block ×3, first 2 shown]
	v_fma_f32 v96, v92, v77, -v37
	v_mul_f32_e32 v92, v92, v78
	s_waitcnt vmcnt(0)
	v_mul_f32_e32 v37, v95, v80
	v_fmac_f32_e32 v34, v35, v71
	v_mul_f32_e32 v35, v46, v74
	v_mul_f32_e32 v49, v45, v74
	v_fmac_f32_e32 v51, v48, v75
	v_fmac_f32_e32 v92, v93, v77
	v_fma_f32 v93, v94, v79, -v37
	v_mul_f32_e32 v94, v94, v80
	v_fma_f32 v35, v45, v73, -v35
	v_fmac_f32_e32 v49, v46, v73
	v_fmac_f32_e32 v94, v95, v79
	v_sub_f32_e32 v47, v88, v50
	v_sub_f32_e32 v48, v89, v51
	;; [unrolled: 1-line block ×6, first 2 shown]
	v_fma_f32 v49, v88, 2.0, -v47
	v_fma_f32 v50, v89, 2.0, -v48
	v_sub_f32_e32 v88, v90, v96
	v_sub_f32_e32 v89, v91, v92
	;; [unrolled: 1-line block ×4, first 2 shown]
	v_fma_f32 v39, v39, 2.0, -v36
	v_fma_f32 v40, v40, 2.0, -v37
	;; [unrolled: 1-line block ×8, first 2 shown]
	ds_write_b64 v81, v[36:37] offset:2240
	ds_write2_b64 v81, v[39:40], v[41:42] offset1:56
	ds_write2_b64 v44, v[45:46], v[47:48] offset0:80 offset1:136
	ds_write2_b64 v81, v[49:50], v[90:91] offset0:112 offset1:168
	ds_write_b64 v81, v[32:33] offset:1792
	ds_write2_b64 v44, v[88:89], v[34:35] offset0:192 offset1:248
	v_add_co_u32_e32 v36, vcc, s5, v52
	v_addc_co_u32_e32 v37, vcc, 0, v43, vcc
	s_waitcnt lgkmcnt(0)
	; wave barrier
	s_waitcnt lgkmcnt(0)
	global_load_dwordx2 v[45:46], v[36:37], off offset:384
	v_add_co_u32_e32 v36, vcc, s4, v52
	v_addc_co_u32_e32 v37, vcc, 0, v43, vcc
	global_load_dwordx2 v[47:48], v[36:37], off offset:560
	global_load_dwordx2 v[49:50], v[36:37], off offset:1120
	;; [unrolled: 1-line block ×7, first 2 shown]
	ds_read2_b64 v[39:42], v81 offset1:70
	s_waitcnt vmcnt(7) lgkmcnt(0)
	v_mul_f32_e32 v43, v40, v46
	v_mul_f32_e32 v99, v39, v46
	v_fma_f32 v98, v39, v45, -v43
	v_fmac_f32_e32 v99, v40, v45
	s_waitcnt vmcnt(6)
	v_mul_f32_e32 v39, v42, v48
	v_mul_f32_e32 v40, v41, v48
	v_fma_f32 v39, v41, v47, -v39
	v_fmac_f32_e32 v40, v42, v47
	ds_write2_b64 v81, v[98:99], v[39:40] offset1:70
	ds_read2_b64 v[39:42], v81 offset0:140 offset1:210
	ds_read2_b64 v[45:48], v44 offset0:24 offset1:94
	s_waitcnt vmcnt(5) lgkmcnt(1)
	v_mul_f32_e32 v43, v40, v50
	v_mul_f32_e32 v99, v39, v50
	v_fma_f32 v98, v39, v49, -v43
	v_fmac_f32_e32 v99, v40, v49
	s_waitcnt vmcnt(4)
	v_mul_f32_e32 v39, v42, v89
	v_mul_f32_e32 v40, v41, v89
	v_fma_f32 v39, v41, v88, -v39
	v_fmac_f32_e32 v40, v42, v88
	ds_write2_b64 v81, v[98:99], v[39:40] offset0:140 offset1:210
	s_waitcnt vmcnt(3) lgkmcnt(1)
	v_mul_f32_e32 v39, v46, v91
	v_fma_f32 v49, v45, v90, -v39
	ds_read2_b64 v[39:42], v44 offset0:164 offset1:234
	v_mul_f32_e32 v50, v45, v91
	v_fmac_f32_e32 v50, v46, v90
	s_waitcnt vmcnt(2)
	v_mul_f32_e32 v43, v48, v93
	v_mul_f32_e32 v46, v47, v93
	v_fma_f32 v45, v47, v92, -v43
	v_fmac_f32_e32 v46, v48, v92
	ds_write2_b64 v44, v[49:50], v[45:46] offset0:24 offset1:94
	s_waitcnt vmcnt(1) lgkmcnt(1)
	v_mul_f32_e32 v43, v40, v95
	v_mul_f32_e32 v46, v39, v95
	v_fma_f32 v45, v39, v94, -v43
	v_fmac_f32_e32 v46, v40, v94
	s_waitcnt vmcnt(0)
	v_mul_f32_e32 v39, v42, v97
	v_mul_f32_e32 v40, v41, v97
	v_fma_f32 v39, v41, v96, -v39
	v_fmac_f32_e32 v40, v42, v96
	ds_write2_b64 v44, v[45:46], v[39:40] offset0:164 offset1:234
	s_and_saveexec_b64 s[4:5], s[0:1]
	s_cbranch_execz .LBB0_13
; %bb.12:
	global_load_dwordx2 v[45:46], v[36:37], off offset:448
	global_load_dwordx2 v[47:48], v[36:37], off offset:1008
	;; [unrolled: 1-line block ×7, first 2 shown]
	v_add_co_u32_e32 v36, vcc, 0x1000, v36
	v_addc_co_u32_e32 v37, vcc, 0, v37, vcc
	global_load_dwordx2 v[36:37], v[36:37], off offset:272
	ds_read2_b64 v[39:42], v81 offset0:56 offset1:126
	v_add_u32_e32 v101, 0xc00, v81
	s_waitcnt vmcnt(7) lgkmcnt(0)
	v_mul_f32_e32 v43, v40, v46
	v_mul_f32_e32 v89, v39, v46
	s_waitcnt vmcnt(6)
	v_mul_f32_e32 v51, v42, v48
	v_mul_f32_e32 v46, v41, v48
	v_fma_f32 v88, v39, v45, -v43
	v_fmac_f32_e32 v89, v40, v45
	v_fma_f32 v45, v41, v47, -v51
	v_fmac_f32_e32 v46, v42, v47
	ds_write2_b64 v81, v[88:89], v[45:46] offset0:56 offset1:126
	ds_read2_b64 v[39:42], v38 offset0:68 offset1:138
	ds_read2_b64 v[45:48], v44 offset0:80 offset1:150
	;; [unrolled: 1-line block ×3, first 2 shown]
	s_waitcnt vmcnt(5) lgkmcnt(2)
	v_mul_f32_e32 v102, v40, v50
	v_mul_f32_e32 v51, v39, v50
	s_waitcnt vmcnt(4)
	v_mul_f32_e32 v103, v42, v93
	v_mul_f32_e32 v100, v41, v93
	s_waitcnt vmcnt(3) lgkmcnt(1)
	v_mul_f32_e32 v104, v46, v95
	v_mul_f32_e32 v43, v45, v95
	s_waitcnt vmcnt(2)
	v_mul_f32_e32 v105, v48, v97
	v_mul_f32_e32 v93, v47, v97
	;; [unrolled: 6-line block ×3, first 2 shown]
	v_fma_f32 v50, v39, v49, -v102
	v_fmac_f32_e32 v51, v40, v49
	v_fma_f32 v99, v41, v92, -v103
	v_fmac_f32_e32 v100, v42, v92
	;; [unrolled: 2-line block ×6, first 2 shown]
	ds_write2_b64 v38, v[50:51], v[99:100] offset0:68 offset1:138
	ds_write2_b64 v44, v[42:43], v[92:93] offset0:80 offset1:150
	;; [unrolled: 1-line block ×3, first 2 shown]
.LBB0_13:
	s_or_b64 exec, exec, s[4:5]
	s_waitcnt lgkmcnt(0)
	; wave barrier
	s_waitcnt lgkmcnt(0)
	ds_read2_b64 v[40:43], v81 offset1:70
	ds_read2_b64 v[36:39], v81 offset0:140 offset1:210
	ds_read2_b64 v[48:51], v44 offset0:24 offset1:94
	;; [unrolled: 1-line block ×3, first 2 shown]
	s_and_saveexec_b64 s[4:5], s[0:1]
	s_cbranch_execz .LBB0_15
; %bb.14:
	v_add_u32_e32 v12, 0x400, v81
	ds_read2_b64 v[24:27], v12 offset0:68 offset1:138
	v_add_u32_e32 v12, 0x800, v81
	ds_read2_b64 v[28:31], v12 offset0:80 offset1:150
	;; [unrolled: 2-line block ×3, first 2 shown]
	ds_read2_b64 v[12:15], v12 offset0:92 offset1:162
.LBB0_15:
	s_or_b64 exec, exec, s[4:5]
	s_waitcnt lgkmcnt(1)
	v_sub_f32_e32 v48, v40, v48
	v_sub_f32_e32 v49, v41, v49
	s_waitcnt lgkmcnt(0)
	v_sub_f32_e32 v44, v36, v44
	v_sub_f32_e32 v45, v37, v45
	;; [unrolled: 1-line block ×6, first 2 shown]
	v_fma_f32 v40, v40, 2.0, -v48
	v_fma_f32 v41, v41, 2.0, -v49
	;; [unrolled: 1-line block ×8, first 2 shown]
	v_sub_f32_e32 v88, v40, v36
	v_sub_f32_e32 v89, v41, v37
	;; [unrolled: 1-line block ×4, first 2 shown]
	v_fma_f32 v36, v40, 2.0, -v88
	v_fma_f32 v37, v41, 2.0, -v89
	v_add_f32_e32 v90, v48, v45
	v_sub_f32_e32 v91, v49, v44
	v_fma_f32 v40, v42, 2.0, -v38
	v_fma_f32 v41, v43, 2.0, -v39
	;; [unrolled: 1-line block ×4, first 2 shown]
	v_add_f32_e32 v92, v50, v47
	v_sub_f32_e32 v93, v51, v46
	v_sub_f32_e32 v40, v36, v40
	;; [unrolled: 1-line block ×3, first 2 shown]
	v_fma_f32 v46, v50, 2.0, -v92
	v_fma_f32 v47, v51, 2.0, -v93
	;; [unrolled: 1-line block ×4, first 2 shown]
	v_mov_b32_e32 v42, v48
	v_mov_b32_e32 v43, v49
	v_add_f32_e32 v36, v88, v39
	v_sub_f32_e32 v37, v89, v38
	v_mov_b32_e32 v38, v90
	v_mov_b32_e32 v39, v91
	v_fmac_f32_e32 v42, 0xbf3504f3, v46
	v_fmac_f32_e32 v43, 0xbf3504f3, v47
	;; [unrolled: 1-line block ×4, first 2 shown]
	v_sub_f32_e32 v28, v32, v28
	v_sub_f32_e32 v29, v33, v29
	v_sub_f32_e32 v12, v24, v12
	v_sub_f32_e32 v13, v25, v13
	v_fmac_f32_e32 v42, 0x3f3504f3, v47
	v_fmac_f32_e32 v43, 0xbf3504f3, v46
	v_fmac_f32_e32 v38, 0x3f3504f3, v93
	v_fmac_f32_e32 v39, 0xbf3504f3, v92
	v_fma_f32 v32, v32, 2.0, -v28
	v_fma_f32 v33, v33, 2.0, -v29
	;; [unrolled: 1-line block ×4, first 2 shown]
	v_sub_f32_e32 v30, v34, v30
	v_sub_f32_e32 v31, v35, v31
	;; [unrolled: 1-line block ×4, first 2 shown]
	v_fma_f32 v46, v48, 2.0, -v42
	v_fma_f32 v47, v49, 2.0, -v43
	;; [unrolled: 1-line block ×10, first 2 shown]
	v_sub_f32_e32 v88, v32, v24
	v_sub_f32_e32 v89, v33, v25
	v_add_f32_e32 v90, v13, v28
	v_sub_f32_e32 v91, v29, v12
	v_fma_f32 v24, v32, 2.0, -v88
	v_fma_f32 v25, v33, 2.0, -v89
	;; [unrolled: 1-line block ×4, first 2 shown]
	v_sub_f32_e32 v33, v34, v26
	v_sub_f32_e32 v32, v35, v27
	v_add_f32_e32 v92, v15, v30
	v_sub_f32_e32 v93, v31, v14
	v_fma_f32 v12, v34, 2.0, -v33
	v_fma_f32 v13, v35, 2.0, -v32
	;; [unrolled: 1-line block ×4, first 2 shown]
	v_mov_b32_e32 v14, v28
	v_mov_b32_e32 v15, v29
	;; [unrolled: 1-line block ×4, first 2 shown]
	v_fmac_f32_e32 v14, 0xbf3504f3, v26
	v_fmac_f32_e32 v15, 0xbf3504f3, v27
	;; [unrolled: 1-line block ×4, first 2 shown]
	v_sub_f32_e32 v12, v24, v12
	v_sub_f32_e32 v13, v25, v13
	v_fmac_f32_e32 v14, 0x3f3504f3, v27
	v_fmac_f32_e32 v15, 0xbf3504f3, v26
	v_add_f32_e32 v32, v32, v88
	v_sub_f32_e32 v33, v89, v33
	v_fmac_f32_e32 v34, 0x3f3504f3, v93
	v_fmac_f32_e32 v35, 0xbf3504f3, v92
	v_fma_f32 v24, v24, 2.0, -v12
	v_fma_f32 v25, v25, 2.0, -v13
	;; [unrolled: 1-line block ×8, first 2 shown]
	s_waitcnt lgkmcnt(0)
	; wave barrier
	ds_write_b128 v85, v[44:47]
	ds_write_b128 v85, v[48:51] offset:16
	ds_write_b128 v85, v[40:43] offset:32
	;; [unrolled: 1-line block ×3, first 2 shown]
	s_and_saveexec_b64 s[4:5], s[0:1]
	s_cbranch_execz .LBB0_17
; %bb.16:
	ds_write_b128 v84, v[24:27]
	ds_write_b128 v84, v[28:31] offset:16
	ds_write_b128 v84, v[12:15] offset:32
	;; [unrolled: 1-line block ×3, first 2 shown]
.LBB0_17:
	s_or_b64 exec, exec, s[4:5]
	v_add_u32_e32 v48, 0x800, v81
	s_waitcnt lgkmcnt(0)
	; wave barrier
	s_waitcnt lgkmcnt(0)
	ds_read2_b64 v[32:35], v81 offset1:80
	ds_read2_b64 v[44:47], v81 offset0:160 offset1:240
	ds_read2_b64 v[40:43], v48 offset0:64 offset1:144
	ds_read_b64 v[36:37], v81 offset:3840
	s_and_saveexec_b64 s[4:5], s[2:3]
	s_cbranch_execz .LBB0_19
; %bb.18:
	ds_read2_b64 v[24:27], v48 offset0:120 offset1:200
	ds_read2_b64 v[48:51], v81 offset0:56 offset1:136
	v_add_u32_e32 v12, 0x400, v81
	ds_read_b64 v[14:15], v81 offset:4288
	ds_read2_b64 v[88:91], v12 offset0:88 offset1:168
	s_waitcnt lgkmcnt(3)
	v_mov_b32_e32 v12, v26
	v_mov_b32_e32 v13, v27
	;; [unrolled: 1-line block ×4, first 2 shown]
	s_waitcnt lgkmcnt(0)
	v_mov_b32_e32 v28, v90
	v_mov_b32_e32 v29, v91
	;; [unrolled: 1-line block ×8, first 2 shown]
.LBB0_19:
	s_or_b64 exec, exec, s[4:5]
	s_waitcnt lgkmcnt(3)
	v_mul_f32_e32 v48, v1, v35
	v_fmac_f32_e32 v48, v0, v34
	v_mul_f32_e32 v34, v1, v34
	v_fma_f32 v34, v0, v35, -v34
	s_waitcnt lgkmcnt(2)
	v_mul_f32_e32 v35, v3, v45
	v_fmac_f32_e32 v35, v2, v44
	v_mul_f32_e32 v44, v3, v44
	v_fma_f32 v44, v2, v45, -v44
	v_mul_f32_e32 v45, v9, v47
	v_fmac_f32_e32 v45, v8, v46
	v_mul_f32_e32 v46, v9, v46
	v_fma_f32 v46, v8, v47, -v46
	s_waitcnt lgkmcnt(1)
	v_mul_f32_e32 v47, v11, v41
	v_fmac_f32_e32 v47, v10, v40
	v_mul_f32_e32 v40, v11, v40
	v_fma_f32 v40, v10, v41, -v40
	v_mul_f32_e32 v41, v5, v43
	v_fmac_f32_e32 v41, v4, v42
	v_mul_f32_e32 v42, v5, v42
	v_fma_f32 v42, v4, v43, -v42
	s_waitcnt lgkmcnt(0)
	v_mul_f32_e32 v43, v7, v37
	v_fmac_f32_e32 v43, v6, v36
	v_mul_f32_e32 v36, v7, v36
	v_fma_f32 v36, v6, v37, -v36
	v_add_f32_e32 v37, v48, v43
	v_add_f32_e32 v49, v34, v36
	v_sub_f32_e32 v34, v34, v36
	v_add_f32_e32 v36, v35, v41
	v_sub_f32_e32 v43, v48, v43
	v_add_f32_e32 v48, v44, v42
	v_sub_f32_e32 v35, v35, v41
	v_sub_f32_e32 v41, v44, v42
	v_add_f32_e32 v42, v45, v47
	v_add_f32_e32 v44, v46, v40
	v_sub_f32_e32 v40, v40, v46
	v_add_f32_e32 v46, v36, v37
	v_sub_f32_e32 v45, v47, v45
	;; [unrolled: 2-line block ×3, first 2 shown]
	v_sub_f32_e32 v37, v37, v42
	v_sub_f32_e32 v36, v42, v36
	v_add_f32_e32 v42, v42, v46
	v_sub_f32_e32 v51, v48, v49
	v_sub_f32_e32 v49, v49, v44
	;; [unrolled: 1-line block ×3, first 2 shown]
	v_add_f32_e32 v44, v44, v47
	v_add_f32_e32 v32, v32, v42
	;; [unrolled: 1-line block ×4, first 2 shown]
	v_sub_f32_e32 v88, v45, v35
	v_sub_f32_e32 v89, v40, v41
	v_add_f32_e32 v33, v33, v44
	v_mov_b32_e32 v90, v32
	v_sub_f32_e32 v45, v43, v45
	v_sub_f32_e32 v40, v34, v40
	;; [unrolled: 1-line block ×4, first 2 shown]
	v_add_f32_e32 v43, v84, v43
	v_add_f32_e32 v34, v85, v34
	v_mul_f32_e32 v37, 0x3f4a47b2, v37
	v_mul_f32_e32 v46, 0x3f4a47b2, v49
	;; [unrolled: 1-line block ×6, first 2 shown]
	s_mov_b32 s6, 0xbf5ff5aa
	v_fmac_f32_e32 v90, 0xbf955555, v42
	v_mov_b32_e32 v42, v33
	s_mov_b32 s7, 0x3f3bfb3b
	s_mov_b32 s12, 0xbf3bfb3b
	v_mul_f32_e32 v88, 0xbf5ff5aa, v35
	v_mul_f32_e32 v89, 0xbf5ff5aa, v41
	v_fmac_f32_e32 v42, 0xbf955555, v44
	v_fma_f32 v44, v50, s7, -v47
	v_fma_f32 v47, v51, s7, -v49
	;; [unrolled: 1-line block ×3, first 2 shown]
	v_fmac_f32_e32 v37, 0x3d64c772, v36
	v_fma_f32 v36, v51, s12, -v46
	v_fmac_f32_e32 v46, 0x3d64c772, v48
	v_fma_f32 v48, v35, s6, -v84
	;; [unrolled: 2-line block ×3, first 2 shown]
	v_fmac_f32_e32 v85, 0xbeae86e6, v40
	s_mov_b32 s13, 0x3eae86e6
	v_fma_f32 v45, v45, s13, -v88
	v_fma_f32 v51, v40, s13, -v89
	v_add_f32_e32 v88, v37, v90
	v_add_f32_e32 v89, v46, v42
	v_fmac_f32_e32 v84, 0xbee1c552, v43
	v_fmac_f32_e32 v85, 0xbee1c552, v34
	v_add_f32_e32 v44, v44, v90
	v_add_f32_e32 v46, v47, v42
	v_add_f32_e32 v47, v49, v90
	v_add_f32_e32 v49, v36, v42
	v_fmac_f32_e32 v48, 0xbee1c552, v43
	v_fmac_f32_e32 v50, 0xbee1c552, v34
	;; [unrolled: 1-line block ×4, first 2 shown]
	v_add_f32_e32 v34, v85, v88
	v_sub_f32_e32 v35, v89, v84
	v_add_f32_e32 v36, v51, v47
	v_sub_f32_e32 v37, v49, v45
	v_sub_f32_e32 v40, v44, v50
	v_add_f32_e32 v41, v48, v46
	v_add_f32_e32 v42, v50, v44
	v_sub_f32_e32 v43, v46, v48
	v_sub_f32_e32 v44, v47, v51
	v_add_f32_e32 v45, v45, v49
	v_sub_f32_e32 v46, v88, v85
	v_add_f32_e32 v47, v84, v89
	s_waitcnt lgkmcnt(0)
	; wave barrier
	ds_write2_b64 v87, v[32:33], v[34:35] offset1:8
	ds_write2_b64 v87, v[36:37], v[40:41] offset0:16 offset1:24
	ds_write2_b64 v87, v[42:43], v[44:45] offset0:32 offset1:40
	ds_write_b64 v87, v[46:47] offset:384
	s_and_saveexec_b64 s[4:5], s[2:3]
	s_cbranch_execz .LBB0_21
; %bb.20:
	v_mul_f32_e32 v32, v1, v25
	v_mul_f32_e32 v33, v7, v15
	;; [unrolled: 1-line block ×4, first 2 shown]
	v_fmac_f32_e32 v32, v0, v24
	v_fmac_f32_e32 v33, v6, v14
	v_mul_f32_e32 v36, v9, v29
	v_fma_f32 v6, v6, v15, -v7
	v_fma_f32 v7, v0, v25, -v1
	v_mul_f32_e32 v0, v9, v28
	v_fmac_f32_e32 v36, v8, v28
	v_fma_f32 v8, v8, v29, -v0
	v_mul_f32_e32 v0, v11, v30
	v_fma_f32 v9, v10, v31, -v0
	v_add_f32_e32 v14, v6, v7
	v_add_f32_e32 v0, v9, v8
	v_mul_f32_e32 v35, v11, v31
	v_sub_f32_e32 v1, v14, v0
	v_fmac_f32_e32 v35, v10, v30
	v_mul_f32_e32 v42, v5, v13
	v_mul_f32_e32 v10, 0x3f4a47b2, v1
	;; [unrolled: 1-line block ×4, first 2 shown]
	v_fmac_f32_e32 v42, v4, v12
	v_fma_f32 v4, v4, v13, -v1
	v_mul_f32_e32 v1, v3, v26
	v_fmac_f32_e32 v41, v2, v26
	v_fma_f32 v2, v2, v27, -v1
	v_add_f32_e32 v5, v4, v2
	v_sub_f32_e32 v1, v0, v5
	v_mov_b32_e32 v3, v10
	v_mul_f32_e32 v11, 0x3d64c772, v1
	v_fmac_f32_e32 v3, 0x3d64c772, v1
	v_add_f32_e32 v1, v5, v14
	v_add_f32_e32 v0, v0, v1
	;; [unrolled: 1-line block ×3, first 2 shown]
	v_mov_b32_e32 v12, v1
	v_fmac_f32_e32 v12, 0xbf955555, v0
	v_add_f32_e32 v15, v33, v32
	v_add_f32_e32 v0, v35, v36
	v_sub_f32_e32 v24, v15, v0
	v_mul_f32_e32 v24, 0x3f4a47b2, v24
	v_add_f32_e32 v25, v42, v41
	v_sub_f32_e32 v26, v0, v25
	v_mov_b32_e32 v28, v24
	v_mul_f32_e32 v27, 0x3d64c772, v26
	v_fmac_f32_e32 v28, 0x3d64c772, v26
	v_add_f32_e32 v26, v25, v15
	v_add_f32_e32 v26, v0, v26
	v_sub_f32_e32 v6, v7, v6
	v_sub_f32_e32 v7, v9, v8
	;; [unrolled: 1-line block ×3, first 2 shown]
	v_add_f32_e32 v0, v38, v26
	v_sub_f32_e32 v2, v7, v4
	v_mov_b32_e32 v29, v0
	v_mul_f32_e32 v9, 0x3f08b237, v2
	v_add_f32_e32 v2, v7, v4
	v_sub_f32_e32 v37, v35, v36
	v_sub_f32_e32 v43, v41, v42
	v_fmac_f32_e32 v29, 0xbf955555, v26
	v_sub_f32_e32 v8, v6, v7
	v_add_f32_e32 v30, v2, v6
	v_sub_f32_e32 v6, v4, v6
	v_sub_f32_e32 v34, v32, v33
	;; [unrolled: 1-line block ×3, first 2 shown]
	v_add_f32_e32 v26, v28, v29
	v_mov_b32_e32 v28, v9
	v_sub_f32_e32 v14, v5, v14
	v_mul_f32_e32 v4, 0xbf5ff5aa, v6
	v_sub_f32_e32 v40, v34, v37
	v_mul_f32_e32 v44, 0x3f08b237, v44
	v_add_f32_e32 v37, v37, v43
	v_fmac_f32_e32 v28, 0xbeae86e6, v8
	v_sub_f32_e32 v7, v43, v34
	v_fma_f32 v5, v14, s12, -v10
	v_sub_f32_e32 v15, v25, v15
	v_fma_f32 v25, v8, s13, -v4
	v_fma_f32 v8, v14, s7, -v11
	v_add_f32_e32 v37, v37, v34
	v_add_f32_e32 v13, v3, v12
	v_add_f32_e32 v10, v5, v12
	v_add_f32_e32 v8, v8, v12
	v_fma_f32 v11, v7, s6, -v44
	v_fma_f32 v12, v6, s6, -v9
	;; [unrolled: 1-line block ×3, first 2 shown]
	v_mov_b32_e32 v45, v44
	v_fmac_f32_e32 v11, 0xbee1c552, v37
	v_fmac_f32_e32 v12, 0xbee1c552, v30
	v_add_f32_e32 v14, v6, v29
	v_fmac_f32_e32 v45, 0xbeae86e6, v40
	v_mul_f32_e32 v31, 0xbf5ff5aa, v7
	v_sub_f32_e32 v7, v8, v11
	v_add_f32_e32 v6, v12, v14
	v_add_f32_e32 v9, v11, v8
	v_sub_f32_e32 v8, v14, v12
	v_mul_u32_u24_e32 v14, 56, v86
	v_fmac_f32_e32 v45, 0xbee1c552, v37
	v_fmac_f32_e32 v28, 0xbee1c552, v30
	v_fma_f32 v31, v40, s13, -v31
	v_fma_f32 v24, v15, s12, -v24
	v_or_b32_e32 v14, v14, v83
	v_add_f32_e32 v3, v45, v13
	v_fmac_f32_e32 v31, 0xbee1c552, v37
	v_add_f32_e32 v24, v24, v29
	v_fmac_f32_e32 v25, 0xbee1c552, v30
	v_sub_f32_e32 v13, v13, v45
	v_add_f32_e32 v12, v28, v26
	v_lshlrev_b32_e32 v14, 3, v14
	v_sub_f32_e32 v2, v26, v28
	v_add_f32_e32 v5, v31, v10
	v_sub_f32_e32 v4, v24, v25
	v_sub_f32_e32 v11, v10, v31
	v_add_f32_e32 v10, v25, v24
	ds_write2_b64 v14, v[0:1], v[12:13] offset1:8
	ds_write2_b64 v14, v[10:11], v[8:9] offset0:16 offset1:24
	ds_write2_b64 v14, v[6:7], v[4:5] offset0:32 offset1:40
	ds_write_b64 v14, v[2:3] offset:384
.LBB0_21:
	s_or_b64 exec, exec, s[4:5]
	s_waitcnt lgkmcnt(0)
	; wave barrier
	s_waitcnt lgkmcnt(0)
	ds_read2_b64 v[4:7], v81 offset1:56
	ds_read2_b64 v[8:11], v81 offset0:112 offset1:168
	v_add_u32_e32 v3, 0x400, v81
	ds_read2_b64 v[12:15], v3 offset0:96 offset1:152
	v_add_u32_e32 v2, 0x800, v81
	ds_read2_b64 v[24:27], v2 offset0:80 offset1:136
	ds_read2_b64 v[28:31], v2 offset0:192 offset1:248
	s_waitcnt lgkmcnt(3)
	v_mul_f32_e32 v32, v21, v9
	v_fmac_f32_e32 v32, v20, v8
	v_mul_f32_e32 v8, v21, v8
	v_fma_f32 v33, v20, v9, -v8
	s_waitcnt lgkmcnt(2)
	v_mul_f32_e32 v34, v23, v13
	v_mul_f32_e32 v8, v23, v12
	s_waitcnt lgkmcnt(1)
	v_mul_f32_e32 v36, v17, v25
	v_fmac_f32_e32 v34, v22, v12
	v_fma_f32 v35, v22, v13, -v8
	v_fmac_f32_e32 v36, v16, v24
	v_mul_f32_e32 v8, v17, v24
	s_waitcnt lgkmcnt(0)
	v_mul_f32_e32 v13, v19, v29
	v_fma_f32 v24, v16, v25, -v8
	v_fmac_f32_e32 v13, v18, v28
	v_mul_f32_e32 v8, v19, v28
	v_mul_f32_e32 v28, v21, v11
	v_add_f32_e32 v9, v34, v36
	v_fma_f32 v25, v18, v29, -v8
	v_fmac_f32_e32 v28, v20, v10
	v_mul_f32_e32 v8, v21, v10
	v_fma_f32 v10, -0.5, v9, v4
	v_fma_f32 v29, v20, v11, -v8
	v_mul_f32_e32 v37, v23, v15
	v_mul_f32_e32 v8, v23, v14
	v_sub_f32_e32 v9, v33, v25
	v_mov_b32_e32 v12, v10
	v_fmac_f32_e32 v37, v22, v14
	v_fma_f32 v38, v22, v15, -v8
	v_fmac_f32_e32 v12, 0xbf737871, v9
	v_sub_f32_e32 v11, v35, v24
	v_sub_f32_e32 v14, v32, v34
	;; [unrolled: 1-line block ×3, first 2 shown]
	v_fmac_f32_e32 v10, 0x3f737871, v9
	v_mul_f32_e32 v23, v17, v27
	v_mul_f32_e32 v8, v17, v26
	v_fmac_f32_e32 v12, 0xbf167918, v11
	v_add_f32_e32 v14, v14, v15
	v_fmac_f32_e32 v10, 0x3f167918, v11
	v_fmac_f32_e32 v23, v16, v26
	v_fma_f32 v26, v16, v27, -v8
	v_mul_f32_e32 v8, v19, v30
	v_fmac_f32_e32 v12, 0x3e9e377a, v14
	v_fmac_f32_e32 v10, 0x3e9e377a, v14
	v_add_f32_e32 v14, v32, v13
	v_fma_f32 v27, v18, v31, -v8
	v_add_f32_e32 v8, v4, v32
	v_fma_f32 v4, -0.5, v14, v4
	v_mov_b32_e32 v14, v4
	v_add_f32_e32 v8, v8, v34
	v_fmac_f32_e32 v14, 0x3f737871, v11
	v_fmac_f32_e32 v4, 0xbf737871, v11
	v_add_f32_e32 v11, v35, v24
	v_add_f32_e32 v8, v8, v36
	v_sub_f32_e32 v15, v34, v32
	v_sub_f32_e32 v16, v36, v13
	v_fma_f32 v11, -0.5, v11, v5
	v_mul_f32_e32 v21, v19, v31
	v_add_f32_e32 v8, v8, v13
	v_fmac_f32_e32 v14, 0xbf167918, v9
	v_add_f32_e32 v15, v15, v16
	v_fmac_f32_e32 v4, 0x3f167918, v9
	v_sub_f32_e32 v16, v32, v13
	v_mov_b32_e32 v13, v11
	v_fmac_f32_e32 v21, v18, v30
	v_fmac_f32_e32 v14, 0x3e9e377a, v15
	;; [unrolled: 1-line block ×4, first 2 shown]
	v_sub_f32_e32 v17, v34, v36
	v_sub_f32_e32 v15, v33, v35
	;; [unrolled: 1-line block ×3, first 2 shown]
	v_fmac_f32_e32 v11, 0xbf737871, v16
	v_fmac_f32_e32 v13, 0x3f167918, v17
	v_add_f32_e32 v15, v15, v18
	v_fmac_f32_e32 v11, 0xbf167918, v17
	v_fmac_f32_e32 v13, 0x3e9e377a, v15
	;; [unrolled: 1-line block ×3, first 2 shown]
	v_add_f32_e32 v15, v33, v25
	v_add_f32_e32 v9, v5, v33
	v_fma_f32 v5, -0.5, v15, v5
	v_mov_b32_e32 v15, v5
	v_fmac_f32_e32 v15, 0xbf737871, v17
	v_sub_f32_e32 v18, v35, v33
	v_sub_f32_e32 v19, v24, v25
	v_fmac_f32_e32 v5, 0x3f737871, v17
	v_fmac_f32_e32 v15, 0x3f167918, v16
	v_add_f32_e32 v18, v18, v19
	v_fmac_f32_e32 v5, 0xbf167918, v16
	v_add_f32_e32 v17, v37, v23
	v_fmac_f32_e32 v15, 0x3e9e377a, v18
	v_fmac_f32_e32 v5, 0x3e9e377a, v18
	v_fma_f32 v18, -0.5, v17, v6
	v_add_f32_e32 v9, v9, v35
	v_sub_f32_e32 v17, v29, v27
	v_mov_b32_e32 v20, v18
	v_add_f32_e32 v9, v9, v24
	v_fmac_f32_e32 v20, 0xbf737871, v17
	v_sub_f32_e32 v19, v38, v26
	v_sub_f32_e32 v22, v28, v37
	;; [unrolled: 1-line block ×3, first 2 shown]
	v_fmac_f32_e32 v18, 0x3f737871, v17
	v_fmac_f32_e32 v20, 0xbf167918, v19
	v_add_f32_e32 v22, v22, v24
	v_fmac_f32_e32 v18, 0x3f167918, v19
	v_fmac_f32_e32 v20, 0x3e9e377a, v22
	;; [unrolled: 1-line block ×3, first 2 shown]
	v_add_f32_e32 v22, v28, v21
	v_add_f32_e32 v16, v6, v28
	v_fma_f32 v6, -0.5, v22, v6
	v_mov_b32_e32 v22, v6
	v_add_f32_e32 v9, v9, v25
	v_add_f32_e32 v16, v16, v37
	v_fmac_f32_e32 v22, 0x3f737871, v19
	v_sub_f32_e32 v24, v37, v28
	v_sub_f32_e32 v25, v23, v21
	v_fmac_f32_e32 v6, 0xbf737871, v19
	v_add_f32_e32 v19, v38, v26
	v_add_f32_e32 v16, v16, v23
	v_fmac_f32_e32 v22, 0xbf167918, v17
	v_add_f32_e32 v24, v24, v25
	v_fmac_f32_e32 v6, 0x3f167918, v17
	v_fma_f32 v19, -0.5, v19, v7
	v_add_f32_e32 v16, v16, v21
	v_fmac_f32_e32 v22, 0x3e9e377a, v24
	v_fmac_f32_e32 v6, 0x3e9e377a, v24
	v_sub_f32_e32 v24, v28, v21
	v_mov_b32_e32 v21, v19
	v_fmac_f32_e32 v21, 0x3f737871, v24
	v_sub_f32_e32 v25, v37, v23
	v_sub_f32_e32 v23, v29, v38
	v_sub_f32_e32 v28, v27, v26
	v_fmac_f32_e32 v19, 0xbf737871, v24
	v_fmac_f32_e32 v21, 0x3f167918, v25
	v_add_f32_e32 v23, v23, v28
	v_fmac_f32_e32 v19, 0xbf167918, v25
	v_fmac_f32_e32 v21, 0x3e9e377a, v23
	v_fmac_f32_e32 v19, 0x3e9e377a, v23
	v_add_f32_e32 v23, v29, v27
	v_add_f32_e32 v17, v7, v29
	v_fmac_f32_e32 v7, -0.5, v23
	v_add_f32_e32 v17, v17, v38
	v_mov_b32_e32 v23, v7
	v_add_f32_e32 v17, v17, v26
	v_fmac_f32_e32 v23, 0xbf737871, v25
	v_sub_f32_e32 v28, v38, v29
	v_sub_f32_e32 v26, v26, v27
	v_fmac_f32_e32 v7, 0x3f737871, v25
	v_fmac_f32_e32 v23, 0x3f167918, v24
	v_add_f32_e32 v26, v28, v26
	v_fmac_f32_e32 v7, 0xbf167918, v24
	v_add_f32_e32 v17, v17, v27
	v_fmac_f32_e32 v23, 0x3e9e377a, v26
	v_fmac_f32_e32 v7, 0x3e9e377a, v26
	s_waitcnt lgkmcnt(0)
	; wave barrier
	ds_write2_b64 v81, v[8:9], v[12:13] offset1:56
	ds_write2_b64 v81, v[14:15], v[4:5] offset0:112 offset1:168
	ds_write2_b64 v3, v[10:11], v[16:17] offset0:96 offset1:152
	;; [unrolled: 1-line block ×4, first 2 shown]
	s_waitcnt lgkmcnt(0)
	; wave barrier
	s_waitcnt lgkmcnt(0)
	ds_read2_b64 v[4:7], v3 offset0:96 offset1:152
	ds_read2_b64 v[8:11], v81 offset1:56
	ds_read2_b64 v[12:15], v2 offset0:80 offset1:136
	ds_read2_b64 v[16:19], v81 offset0:112 offset1:168
	ds_read2_b64 v[20:23], v2 offset0:192 offset1:248
	s_waitcnt lgkmcnt(4)
	v_mul_f32_e32 v24, v72, v7
	v_fmac_f32_e32 v24, v71, v6
	v_mul_f32_e32 v6, v72, v6
	v_fma_f32 v7, v71, v7, -v6
	s_waitcnt lgkmcnt(2)
	v_mul_f32_e32 v6, v74, v12
	v_mul_f32_e32 v25, v74, v13
	v_fma_f32 v13, v73, v13, -v6
	v_mul_f32_e32 v6, v76, v14
	v_mul_f32_e32 v26, v76, v15
	v_fma_f32 v15, v75, v15, -v6
	s_waitcnt lgkmcnt(0)
	v_mul_f32_e32 v6, v78, v20
	v_mul_f32_e32 v27, v78, v21
	v_fma_f32 v21, v77, v21, -v6
	v_mul_f32_e32 v28, v80, v23
	v_mul_f32_e32 v6, v80, v22
	v_fmac_f32_e32 v28, v79, v22
	v_fma_f32 v23, v79, v23, -v6
	v_fmac_f32_e32 v25, v73, v12
	v_fmac_f32_e32 v26, v75, v14
	;; [unrolled: 1-line block ×3, first 2 shown]
	v_sub_f32_e32 v22, v4, v28
	v_sub_f32_e32 v23, v5, v23
	;; [unrolled: 1-line block ×10, first 2 shown]
	v_fma_f32 v4, v4, 2.0, -v22
	v_fma_f32 v5, v5, 2.0, -v23
	;; [unrolled: 1-line block ×10, first 2 shown]
	ds_write_b64 v81, v[6:7] offset:2240
	ds_write2_b64 v81, v[8:9], v[10:11] offset1:56
	ds_write2_b64 v2, v[12:13], v[14:15] offset0:80 offset1:136
	ds_write2_b64 v81, v[16:17], v[18:19] offset0:112 offset1:168
	ds_write_b64 v81, v[4:5] offset:1792
	ds_write2_b64 v2, v[20:21], v[22:23] offset0:192 offset1:248
	s_waitcnt lgkmcnt(0)
	; wave barrier
	s_waitcnt lgkmcnt(0)
	ds_read2_b64 v[4:7], v81 offset1:70
	v_mad_u64_u32 v[0:1], s[2:3], s10, v60, 0
	s_mov_b32 s2, 0x1d41d41d
	s_mov_b32 s3, 0x3f5d41d4
	s_waitcnt lgkmcnt(0)
	v_mul_f32_e32 v8, v70, v5
	v_fmac_f32_e32 v8, v69, v4
	v_mul_f32_e32 v4, v70, v4
	v_fma_f32 v4, v69, v5, -v4
	v_cvt_f64_f32_e32 v[8:9], v8
	v_cvt_f64_f32_e32 v[4:5], v4
	v_mad_u64_u32 v[10:11], s[4:5], s8, v82, 0
	v_mul_f64 v[8:9], v[8:9], s[2:3]
	v_mul_f64 v[4:5], v[4:5], s[2:3]
	v_mad_u64_u32 v[12:13], s[4:5], s11, v60, v[1:2]
	v_mov_b32_e32 v1, v11
	v_mad_u64_u32 v[13:14], s[4:5], s9, v82, v[1:2]
	v_mov_b32_e32 v1, v12
	v_cvt_f32_f64_e32 v8, v[8:9]
	v_cvt_f32_f64_e32 v9, v[4:5]
	v_mul_f32_e32 v4, v68, v7
	v_fmac_f32_e32 v4, v67, v6
	v_mov_b32_e32 v11, v13
	v_cvt_f64_f32_e32 v[12:13], v4
	v_mul_f32_e32 v4, v68, v6
	v_fma_f32 v4, v67, v7, -v4
	v_cvt_f64_f32_e32 v[6:7], v4
	v_lshlrev_b64 v[0:1], 3, v[0:1]
	v_mov_b32_e32 v5, s15
	v_add_co_u32_e32 v4, vcc, s14, v0
	v_addc_co_u32_e32 v5, vcc, v5, v1, vcc
	v_mul_f64 v[0:1], v[12:13], s[2:3]
	v_mul_f64 v[6:7], v[6:7], s[2:3]
	v_lshlrev_b64 v[10:11], 3, v[10:11]
	s_mul_i32 s4, s9, 0x46
	v_add_co_u32_e32 v10, vcc, v4, v10
	v_addc_co_u32_e32 v11, vcc, v5, v11, vcc
	global_store_dwordx2 v[10:11], v[8:9], off
	v_cvt_f32_f64_e32 v0, v[0:1]
	v_cvt_f32_f64_e32 v1, v[6:7]
	ds_read2_b64 v[6:9], v81 offset0:140 offset1:210
	s_mul_hi_u32 s5, s8, 0x46
	s_add_i32 s5, s5, s4
	s_mul_i32 s4, s8, 0x46
	s_lshl_b64 s[4:5], s[4:5], 3
	s_waitcnt lgkmcnt(0)
	v_mul_f32_e32 v12, v66, v7
	v_fmac_f32_e32 v12, v65, v6
	v_mul_f32_e32 v6, v66, v6
	v_cvt_f64_f32_e32 v[12:13], v12
	v_fma_f32 v6, v65, v7, -v6
	v_cvt_f64_f32_e32 v[6:7], v6
	v_mov_b32_e32 v16, s5
	v_add_co_u32_e32 v10, vcc, s4, v10
	v_addc_co_u32_e32 v11, vcc, v11, v16, vcc
	global_store_dwordx2 v[10:11], v[0:1], off
	v_mul_f64 v[0:1], v[12:13], s[2:3]
	v_mul_f32_e32 v12, v64, v9
	v_mul_f64 v[6:7], v[6:7], s[2:3]
	v_fmac_f32_e32 v12, v63, v8
	v_cvt_f64_f32_e32 v[12:13], v12
	v_mul_f32_e32 v8, v64, v8
	v_fma_f32 v8, v63, v9, -v8
	v_cvt_f64_f32_e32 v[8:9], v8
	v_mul_f64 v[12:13], v[12:13], s[2:3]
	v_cvt_f32_f64_e32 v0, v[0:1]
	v_cvt_f32_f64_e32 v1, v[6:7]
	v_mul_f64 v[14:15], v[8:9], s[2:3]
	ds_read2_b64 v[6:9], v2 offset0:24 offset1:94
	v_add_co_u32_e32 v10, vcc, s4, v10
	v_addc_co_u32_e32 v11, vcc, v11, v16, vcc
	global_store_dwordx2 v[10:11], v[0:1], off
	v_cvt_f32_f64_e32 v0, v[12:13]
	s_waitcnt lgkmcnt(0)
	v_mul_f32_e32 v12, v62, v7
	v_fmac_f32_e32 v12, v61, v6
	v_mul_f32_e32 v6, v62, v6
	v_cvt_f32_f64_e32 v1, v[14:15]
	v_cvt_f64_f32_e32 v[12:13], v12
	v_fma_f32 v6, v61, v7, -v6
	v_cvt_f64_f32_e32 v[6:7], v6
	v_add_co_u32_e32 v10, vcc, s4, v10
	v_addc_co_u32_e32 v11, vcc, v11, v16, vcc
	global_store_dwordx2 v[10:11], v[0:1], off
	v_mul_f64 v[0:1], v[12:13], s[2:3]
	v_mul_f32_e32 v12, v59, v9
	v_mul_f64 v[6:7], v[6:7], s[2:3]
	v_fmac_f32_e32 v12, v58, v8
	v_cvt_f64_f32_e32 v[12:13], v12
	v_mul_f32_e32 v8, v59, v8
	v_fma_f32 v8, v58, v9, -v8
	v_cvt_f64_f32_e32 v[8:9], v8
	v_mul_f64 v[12:13], v[12:13], s[2:3]
	v_cvt_f32_f64_e32 v0, v[0:1]
	v_cvt_f32_f64_e32 v1, v[6:7]
	v_mul_f64 v[14:15], v[8:9], s[2:3]
	ds_read2_b64 v[6:9], v2 offset0:164 offset1:234
	v_add_co_u32_e32 v10, vcc, s4, v10
	v_addc_co_u32_e32 v11, vcc, v11, v16, vcc
	global_store_dwordx2 v[10:11], v[0:1], off
	v_cvt_f32_f64_e32 v0, v[12:13]
	s_waitcnt lgkmcnt(0)
	v_mul_f32_e32 v12, v57, v7
	v_fmac_f32_e32 v12, v56, v6
	v_cvt_f64_f32_e32 v[12:13], v12
	v_mul_f32_e32 v6, v57, v6
	v_cvt_f32_f64_e32 v1, v[14:15]
	v_fma_f32 v6, v56, v7, -v6
	v_mul_f64 v[12:13], v[12:13], s[2:3]
	v_mul_f32_e32 v14, v55, v9
	v_cvt_f64_f32_e32 v[6:7], v6
	v_fmac_f32_e32 v14, v54, v8
	v_mul_f32_e32 v8, v55, v8
	v_fma_f32 v8, v54, v9, -v8
	v_cvt_f64_f32_e32 v[14:15], v14
	v_cvt_f64_f32_e32 v[8:9], v8
	v_add_co_u32_e32 v10, vcc, s4, v10
	v_mul_f64 v[6:7], v[6:7], s[2:3]
	v_addc_co_u32_e32 v11, vcc, v11, v16, vcc
	global_store_dwordx2 v[10:11], v[0:1], off
	v_cvt_f32_f64_e32 v0, v[12:13]
	v_mul_f64 v[12:13], v[14:15], s[2:3]
	v_mul_f64 v[8:9], v[8:9], s[2:3]
	v_cvt_f32_f64_e32 v1, v[6:7]
	v_add_co_u32_e32 v6, vcc, s4, v10
	v_addc_co_u32_e32 v7, vcc, v11, v16, vcc
	v_cvt_f32_f64_e32 v10, v[12:13]
	v_cvt_f32_f64_e32 v11, v[8:9]
	global_store_dwordx2 v[6:7], v[0:1], off
	v_add_co_u32_e32 v0, vcc, s4, v6
	v_addc_co_u32_e32 v1, vcc, v7, v16, vcc
	global_store_dwordx2 v[0:1], v[10:11], off
	s_and_b64 exec, exec, s[0:1]
	s_cbranch_execz .LBB0_23
; %bb.22:
	global_load_dwordx2 v[14:15], v[52:53], off offset:448
	global_load_dwordx2 v[16:17], v[52:53], off offset:1008
	;; [unrolled: 1-line block ×4, first 2 shown]
	ds_read2_b64 v[6:9], v81 offset0:56 offset1:126
	v_mov_b32_e32 v10, 0xfffff270
	v_mad_u64_u32 v[0:1], s[0:1], s8, v10, v[0:1]
	ds_read2_b64 v[10:13], v3 offset0:68 offset1:138
	s_mul_i32 s6, s9, 0xfffff270
	s_sub_i32 s0, s6, s8
	v_mov_b32_e32 v28, s5
	v_add_u32_e32 v1, s0, v1
	v_add_co_u32_e32 v22, vcc, s4, v0
	v_addc_co_u32_e32 v23, vcc, v1, v28, vcc
	v_add_co_u32_e32 v24, vcc, s4, v22
	v_addc_co_u32_e32 v25, vcc, v23, v28, vcc
	;; [unrolled: 2-line block ×3, first 2 shown]
	s_mul_i32 s5, s9, 0x460
	s_waitcnt vmcnt(3) lgkmcnt(1)
	v_mul_f32_e32 v3, v7, v15
	v_mul_f32_e32 v15, v6, v15
	s_waitcnt vmcnt(2)
	v_mul_f32_e32 v29, v9, v17
	v_mul_f32_e32 v17, v8, v17
	v_fmac_f32_e32 v3, v6, v14
	v_fma_f32 v14, v14, v7, -v15
	s_waitcnt vmcnt(1) lgkmcnt(0)
	v_mul_f32_e32 v30, v11, v19
	v_mul_f32_e32 v19, v10, v19
	s_waitcnt vmcnt(0)
	v_mul_f32_e32 v31, v13, v21
	v_mul_f32_e32 v21, v12, v21
	v_fmac_f32_e32 v29, v8, v16
	v_fma_f32 v15, v16, v9, -v17
	v_cvt_f64_f32_e32 v[6:7], v3
	v_cvt_f64_f32_e32 v[8:9], v14
	v_fmac_f32_e32 v30, v10, v18
	v_fma_f32 v16, v18, v11, -v19
	v_fmac_f32_e32 v31, v12, v20
	v_fma_f32 v20, v20, v13, -v21
	v_cvt_f64_f32_e32 v[10:11], v29
	v_cvt_f64_f32_e32 v[12:13], v15
	v_cvt_f64_f32_e32 v[14:15], v30
	v_cvt_f64_f32_e32 v[16:17], v16
	v_cvt_f64_f32_e32 v[18:19], v31
	v_cvt_f64_f32_e32 v[20:21], v20
	v_mul_f64 v[6:7], v[6:7], s[2:3]
	v_mul_f64 v[8:9], v[8:9], s[2:3]
	;; [unrolled: 1-line block ×8, first 2 shown]
	v_cvt_f32_f64_e32 v6, v[6:7]
	v_cvt_f32_f64_e32 v7, v[8:9]
	;; [unrolled: 1-line block ×8, first 2 shown]
	global_store_dwordx2 v[0:1], v[6:7], off
	global_store_dwordx2 v[22:23], v[8:9], off
	;; [unrolled: 1-line block ×4, first 2 shown]
	global_load_dwordx2 v[6:7], v[52:53], off offset:2688
	s_nop 0
	global_load_dwordx2 v[8:9], v[52:53], off offset:3248
	v_or_b32_e32 v12, 0x150, v82
	v_mad_u64_u32 v[10:11], s[0:1], s8, v12, 0
	ds_read2_b64 v[0:3], v2 offset0:80 offset1:150
	v_mov_b32_e32 v13, 0x460
	v_mad_u64_u32 v[11:12], s[0:1], s9, v12, v[11:12]
	v_lshlrev_b64 v[10:11], 3, v[10:11]
	v_add_co_u32_e32 v4, vcc, v4, v10
	v_addc_co_u32_e32 v5, vcc, v5, v11, vcc
	s_waitcnt vmcnt(1) lgkmcnt(0)
	v_mul_f32_e32 v12, v1, v7
	v_mul_f32_e32 v7, v0, v7
	s_waitcnt vmcnt(0)
	v_mul_f32_e32 v14, v3, v9
	v_mul_f32_e32 v9, v2, v9
	v_fmac_f32_e32 v12, v0, v6
	v_fma_f32 v6, v6, v1, -v7
	v_fmac_f32_e32 v14, v2, v8
	v_fma_f32 v8, v8, v3, -v9
	v_cvt_f64_f32_e32 v[0:1], v12
	v_cvt_f64_f32_e32 v[2:3], v6
	v_cvt_f64_f32_e32 v[6:7], v14
	v_cvt_f64_f32_e32 v[8:9], v8
	v_mul_f64 v[0:1], v[0:1], s[2:3]
	v_mul_f64 v[2:3], v[2:3], s[2:3]
	;; [unrolled: 1-line block ×4, first 2 shown]
	v_mad_u64_u32 v[12:13], s[0:1], s8, v13, v[26:27]
	s_movk_i32 s0, 0x1000
	v_cvt_f32_f64_e32 v0, v[0:1]
	v_cvt_f32_f64_e32 v1, v[2:3]
	;; [unrolled: 1-line block ×4, first 2 shown]
	v_add_u32_e32 v13, s5, v13
	global_store_dwordx2 v[4:5], v[0:1], off
	global_store_dwordx2 v[12:13], v[2:3], off
	global_load_dwordx2 v[4:5], v[52:53], off offset:3808
	v_add_u32_e32 v0, 0xc00, v81
	ds_read2_b64 v[0:3], v0 offset0:92 offset1:162
	s_waitcnt vmcnt(0) lgkmcnt(0)
	v_mul_f32_e32 v6, v1, v5
	v_mul_f32_e32 v5, v0, v5
	v_fmac_f32_e32 v6, v0, v4
	v_fma_f32 v4, v4, v1, -v5
	v_cvt_f64_f32_e32 v[0:1], v6
	v_cvt_f64_f32_e32 v[4:5], v4
	v_add_co_u32_e32 v6, vcc, s0, v52
	v_mul_f64 v[0:1], v[0:1], s[2:3]
	v_mul_f64 v[4:5], v[4:5], s[2:3]
	v_addc_co_u32_e32 v7, vcc, 0, v53, vcc
	v_cvt_f32_f64_e32 v0, v[0:1]
	v_cvt_f32_f64_e32 v1, v[4:5]
	v_add_co_u32_e32 v4, vcc, s4, v12
	v_addc_co_u32_e32 v5, vcc, v13, v28, vcc
	global_store_dwordx2 v[4:5], v[0:1], off
	global_load_dwordx2 v[0:1], v[6:7], off offset:272
	s_waitcnt vmcnt(0)
	v_mul_f32_e32 v6, v3, v1
	v_mul_f32_e32 v1, v2, v1
	v_fmac_f32_e32 v6, v2, v0
	v_fma_f32 v2, v0, v3, -v1
	v_cvt_f64_f32_e32 v[0:1], v6
	v_cvt_f64_f32_e32 v[2:3], v2
	v_mul_f64 v[0:1], v[0:1], s[2:3]
	v_mul_f64 v[2:3], v[2:3], s[2:3]
	v_cvt_f32_f64_e32 v0, v[0:1]
	v_cvt_f32_f64_e32 v1, v[2:3]
	v_add_co_u32_e32 v2, vcc, s4, v4
	v_addc_co_u32_e32 v3, vcc, v5, v28, vcc
	global_store_dwordx2 v[2:3], v[0:1], off
.LBB0_23:
	s_endpgm
	.section	.rodata,"a",@progbits
	.p2align	6, 0x0
	.amdhsa_kernel bluestein_single_fwd_len560_dim1_sp_op_CI_CI
		.amdhsa_group_segment_fixed_size 4480
		.amdhsa_private_segment_fixed_size 0
		.amdhsa_kernarg_size 104
		.amdhsa_user_sgpr_count 6
		.amdhsa_user_sgpr_private_segment_buffer 1
		.amdhsa_user_sgpr_dispatch_ptr 0
		.amdhsa_user_sgpr_queue_ptr 0
		.amdhsa_user_sgpr_kernarg_segment_ptr 1
		.amdhsa_user_sgpr_dispatch_id 0
		.amdhsa_user_sgpr_flat_scratch_init 0
		.amdhsa_user_sgpr_private_segment_size 0
		.amdhsa_uses_dynamic_stack 0
		.amdhsa_system_sgpr_private_segment_wavefront_offset 0
		.amdhsa_system_sgpr_workgroup_id_x 1
		.amdhsa_system_sgpr_workgroup_id_y 0
		.amdhsa_system_sgpr_workgroup_id_z 0
		.amdhsa_system_sgpr_workgroup_info 0
		.amdhsa_system_vgpr_workitem_id 0
		.amdhsa_next_free_vgpr 108
		.amdhsa_next_free_sgpr 22
		.amdhsa_reserve_vcc 1
		.amdhsa_reserve_flat_scratch 0
		.amdhsa_float_round_mode_32 0
		.amdhsa_float_round_mode_16_64 0
		.amdhsa_float_denorm_mode_32 3
		.amdhsa_float_denorm_mode_16_64 3
		.amdhsa_dx10_clamp 1
		.amdhsa_ieee_mode 1
		.amdhsa_fp16_overflow 0
		.amdhsa_exception_fp_ieee_invalid_op 0
		.amdhsa_exception_fp_denorm_src 0
		.amdhsa_exception_fp_ieee_div_zero 0
		.amdhsa_exception_fp_ieee_overflow 0
		.amdhsa_exception_fp_ieee_underflow 0
		.amdhsa_exception_fp_ieee_inexact 0
		.amdhsa_exception_int_div_zero 0
	.end_amdhsa_kernel
	.text
.Lfunc_end0:
	.size	bluestein_single_fwd_len560_dim1_sp_op_CI_CI, .Lfunc_end0-bluestein_single_fwd_len560_dim1_sp_op_CI_CI
                                        ; -- End function
	.section	.AMDGPU.csdata,"",@progbits
; Kernel info:
; codeLenInByte = 10904
; NumSgprs: 26
; NumVgprs: 108
; ScratchSize: 0
; MemoryBound: 0
; FloatMode: 240
; IeeeMode: 1
; LDSByteSize: 4480 bytes/workgroup (compile time only)
; SGPRBlocks: 3
; VGPRBlocks: 26
; NumSGPRsForWavesPerEU: 26
; NumVGPRsForWavesPerEU: 108
; Occupancy: 2
; WaveLimiterHint : 1
; COMPUTE_PGM_RSRC2:SCRATCH_EN: 0
; COMPUTE_PGM_RSRC2:USER_SGPR: 6
; COMPUTE_PGM_RSRC2:TRAP_HANDLER: 0
; COMPUTE_PGM_RSRC2:TGID_X_EN: 1
; COMPUTE_PGM_RSRC2:TGID_Y_EN: 0
; COMPUTE_PGM_RSRC2:TGID_Z_EN: 0
; COMPUTE_PGM_RSRC2:TIDIG_COMP_CNT: 0
	.type	__hip_cuid_4e5eb69275637a9e,@object ; @__hip_cuid_4e5eb69275637a9e
	.section	.bss,"aw",@nobits
	.globl	__hip_cuid_4e5eb69275637a9e
__hip_cuid_4e5eb69275637a9e:
	.byte	0                               ; 0x0
	.size	__hip_cuid_4e5eb69275637a9e, 1

	.ident	"AMD clang version 19.0.0git (https://github.com/RadeonOpenCompute/llvm-project roc-6.4.0 25133 c7fe45cf4b819c5991fe208aaa96edf142730f1d)"
	.section	".note.GNU-stack","",@progbits
	.addrsig
	.addrsig_sym __hip_cuid_4e5eb69275637a9e
	.amdgpu_metadata
---
amdhsa.kernels:
  - .args:
      - .actual_access:  read_only
        .address_space:  global
        .offset:         0
        .size:           8
        .value_kind:     global_buffer
      - .actual_access:  read_only
        .address_space:  global
        .offset:         8
        .size:           8
        .value_kind:     global_buffer
      - .actual_access:  read_only
        .address_space:  global
        .offset:         16
        .size:           8
        .value_kind:     global_buffer
      - .actual_access:  read_only
        .address_space:  global
        .offset:         24
        .size:           8
        .value_kind:     global_buffer
      - .actual_access:  read_only
        .address_space:  global
        .offset:         32
        .size:           8
        .value_kind:     global_buffer
      - .offset:         40
        .size:           8
        .value_kind:     by_value
      - .address_space:  global
        .offset:         48
        .size:           8
        .value_kind:     global_buffer
      - .address_space:  global
        .offset:         56
        .size:           8
        .value_kind:     global_buffer
      - .address_space:  global
        .offset:         64
        .size:           8
        .value_kind:     global_buffer
      - .address_space:  global
        .offset:         72
        .size:           8
        .value_kind:     global_buffer
      - .offset:         80
        .size:           4
        .value_kind:     by_value
      - .address_space:  global
        .offset:         88
        .size:           8
        .value_kind:     global_buffer
      - .address_space:  global
        .offset:         96
        .size:           8
        .value_kind:     global_buffer
    .group_segment_fixed_size: 4480
    .kernarg_segment_align: 8
    .kernarg_segment_size: 104
    .language:       OpenCL C
    .language_version:
      - 2
      - 0
    .max_flat_workgroup_size: 56
    .name:           bluestein_single_fwd_len560_dim1_sp_op_CI_CI
    .private_segment_fixed_size: 0
    .sgpr_count:     26
    .sgpr_spill_count: 0
    .symbol:         bluestein_single_fwd_len560_dim1_sp_op_CI_CI.kd
    .uniform_work_group_size: 1
    .uses_dynamic_stack: false
    .vgpr_count:     108
    .vgpr_spill_count: 0
    .wavefront_size: 64
amdhsa.target:   amdgcn-amd-amdhsa--gfx906
amdhsa.version:
  - 1
  - 2
...

	.end_amdgpu_metadata
